;; amdgpu-corpus repo=ROCm/rocFFT kind=compiled arch=gfx1030 opt=O3
	.text
	.amdgcn_target "amdgcn-amd-amdhsa--gfx1030"
	.amdhsa_code_object_version 6
	.protected	bluestein_single_back_len924_dim1_dp_op_CI_CI ; -- Begin function bluestein_single_back_len924_dim1_dp_op_CI_CI
	.globl	bluestein_single_back_len924_dim1_dp_op_CI_CI
	.p2align	8
	.type	bluestein_single_back_len924_dim1_dp_op_CI_CI,@function
bluestein_single_back_len924_dim1_dp_op_CI_CI: ; @bluestein_single_back_len924_dim1_dp_op_CI_CI
; %bb.0:
	s_load_dwordx4 s[8:11], s[4:5], 0x28
	v_mul_u32_u24_e32 v1, 0x5d2, v0
	s_mov_b64 s[42:43], s[2:3]
	s_mov_b64 s[40:41], s[0:1]
	v_mov_b32_e32 v12, 0
	s_add_u32 s40, s40, s7
	v_lshrrev_b32_e32 v1, 16, v1
	s_addc_u32 s41, s41, 0
	s_mov_b32 s0, exec_lo
	v_add_nc_u32_e32 v11, s6, v1
	s_waitcnt lgkmcnt(0)
	v_cmpx_gt_u64_e64 s[8:9], v[11:12]
	s_cbranch_execz .LBB0_31
; %bb.1:
	s_clause 0x1
	s_load_dwordx4 s[0:3], s[4:5], 0x18
	s_load_dwordx2 s[6:7], s[4:5], 0x0
	v_mul_lo_u16 v1, v1, 44
	v_mov_b32_e32 v12, v11
	v_sub_nc_u16 v2, v0, v1
	v_and_b32_e32 v164, 0xffff, v2
	v_lshlrev_b32_e32 v156, 4, v164
	s_waitcnt lgkmcnt(0)
	s_load_dwordx4 s[12:15], s[0:1], 0x0
	s_clause 0x2
	global_load_dwordx4 v[111:114], v156, s[6:7]
	global_load_dwordx4 v[119:122], v156, s[6:7] offset:704
	global_load_dwordx4 v[115:118], v156, s[6:7] offset:1408
	v_add_co_u32 v158, s0, s6, v156
	v_add_co_ci_u32_e64 v159, null, s7, 0, s0
	v_add_co_u32 v81, vcc_lo, 0x1800, v158
	v_add_co_ci_u32_e32 v82, vcc_lo, 0, v159, vcc_lo
	v_add_co_u32 v0, vcc_lo, 0x2000, v158
	v_add_co_ci_u32_e32 v1, vcc_lo, 0, v159, vcc_lo
	s_clause 0x3
	global_load_dwordx4 v[193:196], v[81:82], off offset:1248
	global_load_dwordx4 v[189:192], v[81:82], off offset:1952
	;; [unrolled: 1-line block ×4, first 2 shown]
	buffer_store_dword v12, off, s[40:43], 0 offset:28 ; 4-byte Folded Spill
	buffer_store_dword v13, off, s[40:43], 0 offset:32 ; 4-byte Folded Spill
	v_add_co_u32 v3, vcc_lo, 0x800, v158
	s_waitcnt lgkmcnt(0)
	v_mad_u64_u32 v[7:8], null, s14, v11, 0
	v_mad_u64_u32 v[9:10], null, s12, v164, 0
	v_add_co_ci_u32_e32 v4, vcc_lo, 0, v159, vcc_lo
	s_clause 0x2
	global_load_dwordx4 v[181:184], v[3:4], off offset:64
	global_load_dwordx4 v[123:126], v[3:4], off offset:768
	global_load_dwordx4 v[173:176], v[0:1], off offset:2016
	v_mad_u64_u32 v[11:12], null, s15, v11, v[8:9]
	v_add_co_u32 v5, vcc_lo, 0x2800, v158
	v_add_co_ci_u32_e32 v6, vcc_lo, 0, v159, vcc_lo
	v_add_co_u32 v71, vcc_lo, 0x1000, v158
	v_mad_u64_u32 v[0:1], null, s13, v164, v[10:11]
	v_mov_b32_e32 v8, v11
	v_add_co_ci_u32_e32 v72, vcc_lo, 0, v159, vcc_lo
	v_add_co_u32 v79, vcc_lo, 0x3000, v158
	v_add_co_ci_u32_e32 v80, vcc_lo, 0, v159, vcc_lo
	v_mov_b32_e32 v10, v0
	v_lshlrev_b64 v[0:1], 4, v[7:8]
	global_load_dwordx4 v[169:172], v[3:4], off offset:1472
	s_mul_i32 s1, s13, 0x1ce
	s_mul_hi_u32 s7, s12, 0x1ce
	v_lshlrev_b64 v[3:4], 4, v[9:10]
	s_mul_i32 s0, s12, 0x1ce
	v_add_co_u32 v0, vcc_lo, s10, v0
	v_add_co_ci_u32_e32 v1, vcc_lo, s11, v1, vcc_lo
	s_mul_hi_u32 s9, s12, 0xfffffe5e
	v_add_co_u32 v0, vcc_lo, v0, v3
	s_add_i32 s1, s7, s1
	v_add_co_ci_u32_e32 v1, vcc_lo, v1, v4, vcc_lo
	s_mul_i32 s8, s13, 0xfffffe5e
	s_mul_i32 s6, s12, 0xfffffe5e
	s_sub_i32 s7, s9, s12
	s_lshl_b64 s[12:13], s[0:1], 4
	s_add_i32 s7, s7, s8
	v_add_co_u32 v7, vcc_lo, v0, s12
	v_add_co_ci_u32_e32 v8, vcc_lo, s13, v1, vcc_lo
	s_lshl_b64 s[0:1], s[6:7], 4
	s_clause 0x1
	global_load_dwordx4 v[165:168], v[5:6], off offset:672
	global_load_dwordx4 v[127:130], v[5:6], off offset:1376
	v_add_co_u32 v11, vcc_lo, v7, s0
	v_add_co_ci_u32_e32 v12, vcc_lo, s1, v8, vcc_lo
	s_clause 0x1
	global_load_dwordx4 v[3:6], v[0:1], off
	global_load_dwordx4 v[7:10], v[7:8], off
	v_add_co_u32 v15, vcc_lo, v11, s12
	v_add_co_ci_u32_e32 v16, vcc_lo, s13, v12, vcc_lo
	s_load_dwordx2 s[6:7], s[4:5], 0x38
	v_add_co_u32 v0, vcc_lo, v15, s0
	v_add_co_ci_u32_e32 v1, vcc_lo, s1, v16, vcc_lo
	s_clause 0x1
	global_load_dwordx4 v[11:14], v[11:12], off
	global_load_dwordx4 v[15:18], v[15:16], off
	v_add_co_u32 v23, vcc_lo, v0, s12
	v_add_co_ci_u32_e32 v24, vcc_lo, s13, v1, vcc_lo
	global_load_dwordx4 v[19:22], v[0:1], off
	v_add_co_u32 v0, vcc_lo, v23, s0
	v_add_co_ci_u32_e32 v1, vcc_lo, s1, v24, vcc_lo
	;; [unrolled: 3-line block ×12, first 2 shown]
	s_clause 0x1
	global_load_dwordx4 v[143:146], v[71:72], off offset:128
	global_load_dwordx4 v[135:138], v[71:72], off offset:832
	global_load_dwordx4 v[63:66], v[63:64], off
	global_load_dwordx4 v[131:134], v[79:80], off offset:32
	global_load_dwordx4 v[67:70], v[0:1], off
	v_add_co_u32 v0, vcc_lo, v0, s12
	v_add_co_ci_u32_e32 v1, vcc_lo, s13, v1, vcc_lo
	global_load_dwordx4 v[139:142], v[71:72], off offset:1536
	v_add_co_u32 v75, vcc_lo, v0, s0
	v_add_co_ci_u32_e32 v76, vcc_lo, s1, v1, vcc_lo
	global_load_dwordx4 v[71:74], v[0:1], off
	v_add_co_u32 v0, vcc_lo, v75, s12
	v_add_co_ci_u32_e32 v1, vcc_lo, s13, v76, vcc_lo
	global_load_dwordx4 v[147:150], v[79:80], off offset:736
	global_load_dwordx4 v[75:78], v[75:76], off
	buffer_store_dword v81, off, s[40:43], 0 offset:4 ; 4-byte Folded Spill
	buffer_store_dword v82, off, s[40:43], 0 offset:8 ; 4-byte Folded Spill
	v_cmp_gt_u16_e32 vcc_lo, 22, v2
	s_clause 0x1
	global_load_dwordx4 v[151:154], v[81:82], off offset:192
	global_load_dwordx4 v[160:163], v[79:80], off offset:1440
	global_load_dwordx4 v[79:82], v[0:1], off
	s_waitcnt vmcnt(26)
	v_mul_f64 v[83:84], v[5:6], v[113:114]
	s_waitcnt vmcnt(25)
	v_mul_f64 v[87:88], v[9:10], v[195:196]
	v_mul_f64 v[85:86], v[3:4], v[113:114]
	;; [unrolled: 1-line block ×3, first 2 shown]
	s_waitcnt vmcnt(24)
	v_mul_f64 v[91:92], v[13:14], v[121:122]
	s_waitcnt vmcnt(23)
	v_mul_f64 v[95:96], v[17:18], v[191:192]
	s_waitcnt vmcnt(22)
	v_mul_f64 v[99:100], v[21:22], v[117:118]
	s_waitcnt vmcnt(21)
	v_mul_f64 v[103:104], v[25:26], v[187:188]
	s_waitcnt vmcnt(20)
	v_mul_f64 v[107:108], v[29:30], v[183:184]
	v_mul_f64 v[93:94], v[11:12], v[121:122]
	v_mul_f64 v[97:98], v[15:16], v[191:192]
	;; [unrolled: 1-line block ×5, first 2 shown]
	v_fma_f64 v[3:4], v[3:4], v[111:112], v[83:84]
	buffer_store_dword v111, off, s[40:43], 0 offset:12 ; 4-byte Folded Spill
	buffer_store_dword v112, off, s[40:43], 0 offset:16 ; 4-byte Folded Spill
	;; [unrolled: 1-line block ×4, first 2 shown]
	v_fma_f64 v[7:8], v[7:8], v[193:194], v[87:88]
	buffer_store_dword v193, off, s[40:43], 0 offset:324 ; 4-byte Folded Spill
	buffer_store_dword v194, off, s[40:43], 0 offset:328 ; 4-byte Folded Spill
	;; [unrolled: 1-line block ×4, first 2 shown]
	s_waitcnt vmcnt(19)
	v_mul_f64 v[83:84], v[33:34], v[179:180]
	s_waitcnt vmcnt(18)
	v_mul_f64 v[87:88], v[37:38], v[125:126]
	v_fma_f64 v[11:12], v[11:12], v[119:120], v[91:92]
	buffer_store_dword v119, off, s[40:43], 0 offset:52 ; 4-byte Folded Spill
	buffer_store_dword v120, off, s[40:43], 0 offset:56 ; 4-byte Folded Spill
	buffer_store_dword v121, off, s[40:43], 0 offset:60 ; 4-byte Folded Spill
	buffer_store_dword v122, off, s[40:43], 0 offset:64 ; 4-byte Folded Spill
	v_fma_f64 v[15:16], v[15:16], v[189:190], v[95:96]
	buffer_store_dword v189, off, s[40:43], 0 offset:308 ; 4-byte Folded Spill
	buffer_store_dword v190, off, s[40:43], 0 offset:312 ; 4-byte Folded Spill
	buffer_store_dword v191, off, s[40:43], 0 offset:316 ; 4-byte Folded Spill
	buffer_store_dword v192, off, s[40:43], 0 offset:320 ; 4-byte Folded Spill
	;; [unrolled: 5-line block ×5, first 2 shown]
	s_waitcnt vmcnt(17)
	v_mul_f64 v[91:92], v[41:42], v[175:176]
	s_waitcnt vmcnt(16)
	v_mul_f64 v[95:96], v[45:46], v[171:172]
	;; [unrolled: 2-line block ×8, first 2 shown]
	v_fma_f64 v[5:6], v[5:6], v[111:112], -v[85:86]
	v_mul_f64 v[85:86], v[31:32], v[179:180]
	v_fma_f64 v[9:10], v[9:10], v[193:194], -v[89:90]
	v_mul_f64 v[89:90], v[35:36], v[125:126]
	v_fma_f64 v[31:32], v[31:32], v[177:178], v[83:84]
	buffer_store_dword v177, off, s[40:43], 0 offset:260 ; 4-byte Folded Spill
	buffer_store_dword v178, off, s[40:43], 0 offset:264 ; 4-byte Folded Spill
	;; [unrolled: 1-line block ×4, first 2 shown]
	v_fma_f64 v[35:36], v[35:36], v[123:124], v[87:88]
	buffer_store_dword v123, off, s[40:43], 0 offset:244 ; 4-byte Folded Spill
	buffer_store_dword v124, off, s[40:43], 0 offset:248 ; 4-byte Folded Spill
	buffer_store_dword v125, off, s[40:43], 0 offset:252 ; 4-byte Folded Spill
	buffer_store_dword v126, off, s[40:43], 0 offset:256 ; 4-byte Folded Spill
	v_mul_f64 v[83:84], v[53:54], v[145:146]
	v_mul_f64 v[87:88], v[57:58], v[129:130]
	;; [unrolled: 1-line block ×3, first 2 shown]
	v_fma_f64 v[21:22], v[21:22], v[115:116], -v[101:102]
	v_mul_f64 v[115:116], v[73:74], v[149:150]
	v_fma_f64 v[13:14], v[13:14], v[119:120], -v[93:94]
	v_mul_f64 v[119:120], v[77:78], v[153:154]
	;; [unrolled: 2-line block ×5, first 2 shown]
	v_mul_f64 v[105:106], v[59:60], v[137:138]
	v_mul_f64 v[109:110], v[63:64], v[133:134]
	v_fma_f64 v[39:40], v[39:40], v[173:174], v[91:92]
	buffer_store_dword v173, off, s[40:43], 0 offset:228 ; 4-byte Folded Spill
	buffer_store_dword v174, off, s[40:43], 0 offset:232 ; 4-byte Folded Spill
	buffer_store_dword v175, off, s[40:43], 0 offset:236 ; 4-byte Folded Spill
	buffer_store_dword v176, off, s[40:43], 0 offset:240 ; 4-byte Folded Spill
	v_fma_f64 v[43:44], v[43:44], v[169:170], v[95:96]
	buffer_store_dword v169, off, s[40:43], 0 offset:212 ; 4-byte Folded Spill
	buffer_store_dword v170, off, s[40:43], 0 offset:216 ; 4-byte Folded Spill
	buffer_store_dword v171, off, s[40:43], 0 offset:220 ; 4-byte Folded Spill
	buffer_store_dword v172, off, s[40:43], 0 offset:224 ; 4-byte Folded Spill
	;; [unrolled: 5-line block ×3, first 2 shown]
	v_fma_f64 v[59:60], v[59:60], v[135:136], v[103:104]
	v_fma_f64 v[63:64], v[63:64], v[131:132], v[107:108]
	s_waitcnt vmcnt(0)
	v_mul_f64 v[125:126], v[79:80], v[162:163]
	v_fma_f64 v[67:68], v[67:68], v[139:140], v[111:112]
	v_fma_f64 v[71:72], v[71:72], v[147:148], v[115:116]
	;; [unrolled: 1-line block ×3, first 2 shown]
	v_fma_f64 v[33:34], v[33:34], v[177:178], -v[85:86]
	v_mul_f64 v[85:86], v[51:52], v[145:146]
	v_fma_f64 v[37:38], v[37:38], v[123:124], -v[89:90]
	v_mul_f64 v[123:124], v[81:82], v[162:163]
	v_mul_f64 v[89:90], v[55:56], v[129:130]
	v_fma_f64 v[51:52], v[51:52], v[143:144], v[83:84]
	buffer_store_dword v143, off, s[40:43], 0 offset:132 ; 4-byte Folded Spill
	buffer_store_dword v144, off, s[40:43], 0 offset:136 ; 4-byte Folded Spill
	;; [unrolled: 1-line block ×4, first 2 shown]
	v_fma_f64 v[55:56], v[55:56], v[127:128], v[87:88]
	buffer_store_dword v127, off, s[40:43], 0 offset:68 ; 4-byte Folded Spill
	buffer_store_dword v128, off, s[40:43], 0 offset:72 ; 4-byte Folded Spill
	;; [unrolled: 1-line block ×24, first 2 shown]
	v_fma_f64 v[41:42], v[41:42], v[173:174], -v[93:94]
	v_fma_f64 v[45:46], v[45:46], v[169:170], -v[97:98]
	;; [unrolled: 1-line block ×3, first 2 shown]
	v_fma_f64 v[79:80], v[79:80], v[160:161], v[123:124]
	buffer_store_dword v160, off, s[40:43], 0 offset:180 ; 4-byte Folded Spill
	buffer_store_dword v161, off, s[40:43], 0 offset:184 ; 4-byte Folded Spill
	;; [unrolled: 1-line block ×4, first 2 shown]
	s_load_dwordx4 s[8:11], s[2:3], 0x0
	v_fma_f64 v[53:54], v[53:54], v[143:144], -v[85:86]
	v_fma_f64 v[57:58], v[57:58], v[127:128], -v[89:90]
	;; [unrolled: 1-line block ×7, first 2 shown]
	ds_write_b128 v156, v[3:6]
	ds_write_b128 v156, v[7:10] offset:7392
	ds_write_b128 v156, v[11:14] offset:704
	;; [unrolled: 1-line block ×15, first 2 shown]
	v_fma_f64 v[81:82], v[81:82], v[160:161], -v[125:126]
	ds_write_b128 v156, v[67:70] offset:5632
	ds_write_b128 v156, v[71:74] offset:13024
	;; [unrolled: 1-line block ×4, first 2 shown]
	s_and_saveexec_b32 s2, vcc_lo
	s_cbranch_execz .LBB0_3
; %bb.2:
	v_add_co_u32 v0, s0, v0, s0
	v_add_co_ci_u32_e64 v1, s0, s1, v1, s0
	v_add_co_u32 v8, s0, 0x3800, v158
	v_add_co_ci_u32_e64 v9, s0, 0, v159, s0
	;; [unrolled: 2-line block ×3, first 2 shown]
	global_load_dwordx4 v[0:3], v[0:1], off
	s_clause 0x1
	buffer_load_dword v4, off, s[40:43], 0 offset:4
	buffer_load_dword v5, off, s[40:43], 0 offset:8
	s_waitcnt vmcnt(0)
	s_clause 0x1
	global_load_dwordx4 v[4:7], v[4:5], off offset:896
	global_load_dwordx4 v[8:11], v[8:9], off offset:96
	global_load_dwordx4 v[12:15], v[12:13], off
	s_waitcnt vmcnt(2)
	v_mul_f64 v[16:17], v[2:3], v[6:7]
	v_mul_f64 v[6:7], v[0:1], v[6:7]
	s_waitcnt vmcnt(0)
	v_mul_f64 v[18:19], v[14:15], v[10:11]
	v_mul_f64 v[10:11], v[12:13], v[10:11]
	v_fma_f64 v[0:1], v[0:1], v[4:5], v[16:17]
	v_fma_f64 v[2:3], v[2:3], v[4:5], -v[6:7]
	v_fma_f64 v[4:5], v[12:13], v[8:9], v[18:19]
	v_fma_f64 v[6:7], v[14:15], v[8:9], -v[10:11]
	ds_write_b128 v156, v[0:3] offset:7040
	ds_write_b128 v156, v[4:7] offset:14432
.LBB0_3:
	s_or_b32 exec_lo, exec_lo, s2
	s_waitcnt lgkmcnt(0)
	s_waitcnt_vscnt null, 0x0
	s_barrier
	buffer_gl0_inv
	ds_read_b128 v[0:3], v156
	ds_read_b128 v[8:11], v156 offset:704
	ds_read_b128 v[64:67], v156 offset:7392
	;; [unrolled: 1-line block ×19, first 2 shown]
                                        ; implicit-def: $vgpr88_vgpr89
                                        ; implicit-def: $vgpr36_vgpr37
	s_and_saveexec_b32 s0, vcc_lo
	s_cbranch_execz .LBB0_5
; %bb.4:
	ds_read_b128 v[88:91], v156 offset:7040
	ds_read_b128 v[36:39], v156 offset:14432
.LBB0_5:
	s_or_b32 exec_lo, exec_lo, s0
	s_waitcnt lgkmcnt(17)
	v_add_f64 v[64:65], v[0:1], -v[64:65]
	v_add_f64 v[66:67], v[2:3], -v[66:67]
	s_waitcnt lgkmcnt(16)
	v_add_f64 v[60:61], v[8:9], -v[60:61]
	v_add_f64 v[62:63], v[10:11], -v[62:63]
	;; [unrolled: 3-line block ×10, first 2 shown]
	v_add_f64 v[4:5], v[88:89], -v[36:37]
	v_add_f64 v[6:7], v[90:91], -v[38:39]
	v_fma_f64 v[36:37], v[0:1], 2.0, -v[64:65]
	v_fma_f64 v[38:39], v[2:3], 2.0, -v[66:67]
	;; [unrolled: 1-line block ×14, first 2 shown]
	v_add_co_u32 v157, s0, v164, 44
	v_add_co_ci_u32_e64 v68, null, 0, 0, s0
	v_fma_f64 v[31:32], v[32:33], 2.0, -v[75:76]
	v_fma_f64 v[33:34], v[34:35], 2.0, -v[77:78]
	v_add_co_u32 v68, s0, 0x58, v164
	v_add_co_u32 v72, null, 0x84, v164
	v_add_co_u32 v71, null, 0xb0, v164
	v_lshlrev_b32_e32 v20, 5, v164
	v_lshlrev_b32_e32 v21, 5, v157
	v_fma_f64 v[79:80], v[80:81], 2.0, -v[92:93]
	v_fma_f64 v[81:82], v[82:83], 2.0, -v[94:95]
	;; [unrolled: 1-line block ×4, first 2 shown]
	v_add_co_ci_u32_e64 v69, null, 0, 0, s0
	v_fma_f64 v[83:84], v[84:85], 2.0, -v[96:97]
	v_fma_f64 v[85:86], v[86:87], 2.0, -v[98:99]
	s_load_dwordx2 s[2:3], s[4:5], 0x8
	v_add_co_u32 v70, null, 0xdc, v164
	v_add_co_u32 v69, null, 0x108, v164
	v_lshlrev_b32_e32 v73, 1, v164
	s_waitcnt lgkmcnt(0)
	s_barrier
	buffer_gl0_inv
	ds_write_b128 v20, v[36:39]
	ds_write_b128 v20, v[64:67] offset:16
	v_lshlrev_b32_e32 v22, 5, v68
	ds_write_b128 v21, v[8:11]
	v_lshlrev_b32_e32 v8, 5, v72
	v_lshlrev_b32_e32 v9, 5, v71
	ds_write_b128 v21, v[60:63] offset:16
	ds_write_b128 v22, v[12:15]
	ds_write_b128 v22, v[56:59] offset:16
	ds_write_b128 v8, v[16:19]
	buffer_store_dword v8, off, s[40:43], 0 offset:356 ; 4-byte Folded Spill
	ds_write_b128 v8, v[52:55] offset:16
	v_lshlrev_b32_e32 v8, 5, v70
	ds_write_b128 v9, v[100:103]
	buffer_store_dword v9, off, s[40:43], 0 offset:360 ; 4-byte Folded Spill
	ds_write_b128 v9, v[48:51] offset:16
	v_lshlrev_b32_e32 v9, 5, v69
	v_add_nc_u32_e32 v25, 0x268, v73
	v_add_co_u32 v74, null, 0x1b8, v164
	ds_write_b128 v8, v[104:107]
	ds_write_b128 v8, v[44:47] offset:16
	ds_write_b128 v9, v[27:30]
	v_add_nc_u32_e32 v27, 0x2c0, v73
	v_lshlrev_b32_e32 v10, 4, v25
	v_add_nc_u32_e32 v28, 0x318, v73
	buffer_store_dword v8, off, s[40:43], 0 offset:364 ; 4-byte Folded Spill
	v_lshlrev_b32_e32 v8, 4, v73
	buffer_store_dword v20, off, s[40:43], 0 offset:340 ; 4-byte Folded Spill
	v_lshlrev_b32_e32 v20, 1, v157
	;; [unrolled: 2-line block ×4, first 2 shown]
	v_lshlrev_b32_e32 v23, 1, v71
	v_lshlrev_b32_e32 v24, 1, v70
	;; [unrolled: 1-line block ×3, first 2 shown]
	buffer_store_dword v9, off, s[40:43], 0 offset:368 ; 4-byte Folded Spill
	ds_write_b128 v9, v[40:43] offset:16
	ds_write_b128 v8, v[31:34] offset:9856
	v_lshlrev_b32_e32 v11, 4, v27
	buffer_store_dword v10, off, s[40:43], 0 offset:376 ; 4-byte Folded Spill
	ds_write_b128 v10, v[75:78] offset:16
	v_lshlrev_b32_e32 v10, 4, v28
	v_lshlrev_b32_e32 v9, 5, v74
	ds_write_b128 v8, v[79:82] offset:11264
	buffer_store_dword v11, off, s[40:43], 0 offset:380 ; 4-byte Folded Spill
	buffer_store_dword v9, off, s[40:43], 0 offset:692 ; 4-byte Folded Spill
	ds_write_b128 v11, v[92:95] offset:16
	ds_write_b128 v8, v[83:86] offset:12672
	buffer_store_dword v10, off, s[40:43], 0 offset:372 ; 4-byte Folded Spill
	ds_write_b128 v10, v[96:99] offset:16
	s_and_saveexec_b32 s0, vcc_lo
	s_cbranch_execz .LBB0_7
; %bb.6:
	v_lshlrev_b32_e32 v8, 5, v74
	ds_write_b128 v8, v[0:3]
	ds_write_b128 v8, v[4:7] offset:16
.LBB0_7:
	s_or_b32 exec_lo, exec_lo, s0
	s_waitcnt lgkmcnt(0)
	s_waitcnt_vscnt null, 0x0
	s_barrier
	buffer_gl0_inv
	ds_read_b128 v[8:11], v156
	ds_read_b128 v[12:15], v156 offset:704
	ds_read_b128 v[116:119], v156 offset:7392
	;; [unrolled: 1-line block ×19, first 2 shown]
	s_and_saveexec_b32 s0, vcc_lo
	s_cbranch_execz .LBB0_9
; %bb.8:
	ds_read_b128 v[0:3], v156 offset:7040
	ds_read_b128 v[4:7], v156 offset:14432
.LBB0_9:
	s_or_b32 exec_lo, exec_lo, s0
	v_and_b32_e32 v30, 1, v164
	v_lshlrev_b32_e32 v29, 4, v30
	v_and_or_b32 v20, 0xfc, v20, v30
	v_and_or_b32 v21, 0x1fc, v21, v30
	;; [unrolled: 1-line block ×4, first 2 shown]
	global_load_dwordx4 v[84:87], v29, s[2:3]
	v_lshlrev_b32_e32 v29, 1, v74
	v_and_or_b32 v24, 0x3fc, v24, v30
	v_and_or_b32 v26, 0x2fc, v26, v30
	v_lshlrev_b32_e32 v165, 4, v20
	v_lshlrev_b32_e32 v163, 4, v21
	buffer_store_dword v29, off, s[40:43], 0 offset:352 ; 4-byte Folded Spill
	v_and_or_b32 v29, 0x7c, v73, v30
	v_lshlrev_b32_e32 v162, 4, v22
	v_lshlrev_b32_e32 v161, 4, v23
	v_and_or_b32 v60, 0x2fc, v25, v30
	v_and_or_b32 v61, 0x3fc, v27, v30
	buffer_store_dword v30, off, s[40:43], 0 offset:688 ; 4-byte Folded Spill
	v_and_or_b32 v152, 0x3fc, v28, v30
	v_lshlrev_b32_e32 v166, 4, v29
	v_lshlrev_b32_e32 v155, 4, v24
	;; [unrolled: 1-line block ×5, first 2 shown]
	s_waitcnt vmcnt(0) lgkmcnt(0)
	s_waitcnt_vscnt null, 0x0
	s_barrier
	buffer_gl0_inv
	buffer_store_dword v166, off, s[40:43], 0 offset:416 ; 4-byte Folded Spill
	v_mul_f64 v[20:21], v[118:119], v[86:87]
	v_mul_f64 v[22:23], v[116:117], v[86:87]
	;; [unrolled: 1-line block ×22, first 2 shown]
	v_fma_f64 v[20:21], v[116:117], v[84:85], -v[20:21]
	v_fma_f64 v[22:23], v[118:119], v[84:85], v[22:23]
	v_fma_f64 v[24:25], v[112:113], v[84:85], -v[24:25]
	v_fma_f64 v[26:27], v[114:115], v[84:85], v[26:27]
	;; [unrolled: 2-line block ×11, first 2 shown]
	v_add_f64 v[20:21], v[8:9], -v[20:21]
	v_add_f64 v[22:23], v[10:11], -v[22:23]
	;; [unrolled: 1-line block ×22, first 2 shown]
	v_fma_f64 v[4:5], v[8:9], 2.0, -v[20:21]
	v_fma_f64 v[6:7], v[10:11], 2.0, -v[22:23]
	;; [unrolled: 1-line block ×20, first 2 shown]
	v_lshlrev_b32_e32 v81, 4, v152
	ds_write_b128 v166, v[20:23] offset:32
	ds_write_b128 v166, v[4:7]
	ds_write_b128 v165, v[8:11]
	buffer_store_dword v165, off, s[40:43], 0 offset:412 ; 4-byte Folded Spill
	ds_write_b128 v165, v[24:27] offset:32
	ds_write_b128 v163, v[12:15]
	buffer_store_dword v163, off, s[40:43], 0 offset:408 ; 4-byte Folded Spill
	ds_write_b128 v163, v[28:31] offset:32
	;; [unrolled: 3-line block ×9, first 2 shown]
	s_and_saveexec_b32 s0, vcc_lo
	s_cbranch_execz .LBB0_11
; %bb.10:
	buffer_load_dword v5, off, s[40:43], 0 offset:352 ; 4-byte Folded Reload
	v_fma_f64 v[2:3], v[2:3], 2.0, -v[246:247]
	v_fma_f64 v[0:1], v[0:1], 2.0, -v[244:245]
	v_and_b32_e32 v4, 1, v164
	s_waitcnt vmcnt(0)
	v_and_or_b32 v4, 0x3fc, v5, v4
	v_lshlrev_b32_e32 v4, 4, v4
	ds_write_b128 v4, v[0:3]
	ds_write_b128 v4, v[244:247] offset:32
.LBB0_11:
	s_or_b32 exec_lo, exec_lo, s0
	v_and_b32_e32 v20, 3, v164
	s_waitcnt lgkmcnt(0)
	s_waitcnt_vscnt null, 0x0
	s_barrier
	buffer_gl0_inv
	v_lshrrev_b32_e32 v25, 2, v164
	v_lshlrev_b32_e32 v0, 5, v20
	v_lshrrev_b32_e32 v29, 2, v157
	v_lshrrev_b32_e32 v30, 2, v68
	;; [unrolled: 1-line block ×4, first 2 shown]
	s_clause 0x1
	global_load_dwordx4 v[88:91], v0, s[2:3] offset:32
	global_load_dwordx4 v[80:83], v0, s[2:3] offset:48
	ds_read_b128 v[152:155], v156 offset:4928
	ds_read_b128 v[108:111], v156
	ds_read_b128 v[100:103], v156 offset:704
	ds_read_b128 v[16:19], v156 offset:9856
	;; [unrolled: 1-line block ×19, first 2 shown]
	v_mul_u32_u24_e32 v39, 12, v25
	v_mul_u32_u24_e32 v40, 12, v29
	;; [unrolled: 1-line block ×5, first 2 shown]
	v_lshrrev_b32_e32 v37, 2, v70
	v_lshrrev_b32_e32 v38, 2, v69
	v_or_b32_e32 v67, v39, v20
	v_or_b32_e32 v79, v40, v20
	;; [unrolled: 1-line block ×3, first 2 shown]
	v_mul_u32_u24_e32 v46, 12, v37
	v_mul_u32_u24_e32 v47, 12, v38
	v_or_b32_e32 v161, v42, v20
	s_mov_b32 s0, 0xe8584caa
	s_mov_b32 s1, 0x3febb67a
	;; [unrolled: 1-line block ×4, first 2 shown]
	s_waitcnt vmcnt(0) lgkmcnt(0)
	s_barrier
	buffer_gl0_inv
	s_mov_b32 s18, 0xe976ee23
	s_mov_b32 s19, 0xbfe11646
	;; [unrolled: 1-line block ×16, first 2 shown]
	v_mul_f64 v[21:22], v[154:155], v[90:91]
	v_mul_f64 v[23:24], v[152:153], v[90:91]
	;; [unrolled: 1-line block ×18, first 2 shown]
	v_fma_f64 v[21:22], v[152:153], v[88:89], -v[21:22]
	v_fma_f64 v[23:24], v[154:155], v[88:89], v[23:24]
	v_fma_f64 v[16:17], v[16:17], v[80:81], -v[25:26]
	v_fma_f64 v[18:19], v[18:19], v[80:81], v[27:28]
	v_mul_f64 v[25:26], v[142:143], v[90:91]
	v_mul_f64 v[27:28], v[140:141], v[90:91]
	v_fma_f64 v[12:13], v[12:13], v[88:89], -v[29:30]
	v_fma_f64 v[14:15], v[14:15], v[88:89], v[31:32]
	v_mul_f64 v[29:30], v[138:139], v[82:83]
	v_mul_f64 v[31:32], v[136:137], v[82:83]
	;; [unrolled: 4-line block ×3, first 2 shown]
	v_or_b32_e32 v152, v45, v20
	v_or_b32_e32 v153, v46, v20
	;; [unrolled: 1-line block ×3, first 2 shown]
	v_fma_f64 v[37:38], v[148:149], v[88:89], -v[37:38]
	v_fma_f64 v[39:40], v[150:151], v[88:89], v[39:40]
	v_mul_f64 v[45:46], v[130:131], v[82:83]
	v_mul_f64 v[47:48], v[128:129], v[82:83]
	v_fma_f64 v[41:42], v[144:145], v[80:81], -v[41:42]
	v_fma_f64 v[43:44], v[146:147], v[80:81], v[43:44]
	v_add_f64 v[65:66], v[108:109], v[21:22]
	v_add_f64 v[69:70], v[110:111], v[23:24]
	;; [unrolled: 1-line block ×3, first 2 shown]
	v_fma_f64 v[25:26], v[140:141], v[88:89], -v[25:26]
	v_fma_f64 v[27:28], v[142:143], v[88:89], v[27:28]
	v_add_f64 v[73:74], v[23:24], v[18:19]
	v_add_f64 v[75:76], v[100:101], v[12:13]
	v_fma_f64 v[29:30], v[136:137], v[80:81], -v[29:30]
	v_fma_f64 v[31:32], v[138:139], v[80:81], v[31:32]
	v_add_f64 v[77:78], v[102:103], v[14:15]
	v_and_b32_e32 v20, 0xff, v164
	v_fma_f64 v[61:62], v[132:133], v[88:89], -v[8:9]
	v_fma_f64 v[63:64], v[134:135], v[88:89], v[10:11]
	v_mul_f64 v[8:9], v[114:115], v[82:83]
	v_mul_f64 v[10:11], v[112:113], v[82:83]
	v_mul_lo_u16 v132, 0xab, v20
	v_fma_f64 v[49:50], v[124:125], v[88:89], -v[49:50]
	v_fma_f64 v[51:52], v[126:127], v[88:89], v[51:52]
	v_fma_f64 v[45:46], v[128:129], v[80:81], -v[45:46]
	v_fma_f64 v[47:48], v[130:131], v[80:81], v[47:48]
	;; [unrolled: 2-line block ×4, first 2 shown]
	v_add_f64 v[118:119], v[12:13], v[33:34]
	v_add_f64 v[120:121], v[14:15], v[35:36]
	v_add_f64 v[122:123], v[23:24], -v[18:19]
	v_add_f64 v[124:125], v[21:22], -v[16:17]
	v_add_f64 v[20:21], v[37:38], v[41:42]
	v_add_f64 v[22:23], v[39:40], v[43:44]
	v_add_f64 v[126:127], v[12:13], -v[33:34]
	v_add_f64 v[128:129], v[39:40], -v[43:44]
	v_add_f64 v[12:13], v[75:76], v[33:34]
	v_add_f64 v[33:34], v[25:26], v[29:30]
	v_add_f64 v[130:131], v[25:26], -v[29:30]
	v_fma_f64 v[116:117], v[112:113], v[80:81], -v[8:9]
	v_fma_f64 v[113:114], v[114:115], v[80:81], v[10:11]
	v_add_f64 v[8:9], v[65:66], v[16:17]
	v_add_f64 v[10:11], v[69:70], v[18:19]
	;; [unrolled: 1-line block ×4, first 2 shown]
	v_add_f64 v[69:70], v[14:15], -v[35:36]
	v_fma_f64 v[39:40], v[71:72], -0.5, v[108:109]
	v_fma_f64 v[71:72], v[73:74], -0.5, v[110:111]
	v_add_f64 v[73:74], v[4:5], v[25:26]
	v_add_f64 v[108:109], v[6:7], v[27:28]
	;; [unrolled: 1-line block ×4, first 2 shown]
	v_fma_f64 v[75:76], v[118:119], -0.5, v[100:101]
	v_fma_f64 v[77:78], v[120:121], -0.5, v[102:103]
	v_add_f64 v[100:101], v[61:62], v[45:46]
	v_add_f64 v[102:103], v[63:64], v[47:48]
	v_fma_f64 v[104:105], v[20:21], -0.5, v[104:105]
	v_fma_f64 v[106:107], v[22:23], -0.5, v[106:107]
	v_add_f64 v[118:119], v[96:97], v[61:62]
	v_add_f64 v[120:121], v[27:28], -v[31:32]
	v_add_f64 v[26:27], v[49:50], v[53:54]
	v_lshrrev_b16 v112, 11, v132
	v_add_f64 v[110:111], v[98:99], v[63:64]
	v_add_f64 v[63:64], v[63:64], -v[47:48]
	v_add_f64 v[24:25], v[92:93], v[49:50]
	v_add_f64 v[18:19], v[16:17], v[43:44]
	;; [unrolled: 1-line block ×3, first 2 shown]
	v_add_f64 v[65:66], v[37:38], -v[41:42]
	v_add_f64 v[41:42], v[59:60], v[113:114]
	v_add_f64 v[132:133], v[59:60], -v[113:114]
	v_add_f64 v[20:21], v[73:74], v[29:30]
	v_add_f64 v[22:23], v[108:109], v[31:32]
	;; [unrolled: 1-line block ×3, first 2 shown]
	v_fma_f64 v[73:74], v[33:34], -0.5, v[4:5]
	v_fma_f64 v[108:109], v[35:36], -0.5, v[6:7]
	v_add_f64 v[30:31], v[51:52], v[55:56]
	v_add_f64 v[32:33], v[0:1], v[57:58]
	;; [unrolled: 1-line block ×4, first 2 shown]
	v_fma_f64 v[96:97], v[100:101], -0.5, v[96:97]
	v_fma_f64 v[98:99], v[102:103], -0.5, v[98:99]
	v_add_f64 v[4:5], v[118:119], v[45:46]
	v_add_f64 v[100:101], v[61:62], -v[45:46]
	v_add_f64 v[102:103], v[51:52], -v[55:56]
	;; [unrolled: 1-line block ×4, first 2 shown]
	v_fma_f64 v[92:93], v[26:27], -0.5, v[92:93]
	v_mul_lo_u16 v43, v112, 12
	v_add_f64 v[6:7], v[110:111], v[47:48]
	v_lshlrev_b32_e32 v140, 4, v67
	v_add_f64 v[24:25], v[24:25], v[53:54]
	v_fma_f64 v[48:49], v[128:129], s[4:5], v[104:105]
	v_sub_nc_u16 v38, v164, v43
	v_fma_f64 v[46:47], v[65:66], s[4:5], v[106:107]
	v_add_f64 v[26:27], v[28:29], v[55:56]
	v_fma_f64 v[50:51], v[65:66], s[0:1], v[106:107]
	v_fma_f64 v[52:53], v[120:121], s[0:1], v[73:74]
	v_fma_f64 v[94:95], v[30:31], -0.5, v[94:95]
	v_add_f64 v[28:29], v[32:33], v[116:117]
	v_fma_f64 v[115:116], v[34:35], -0.5, v[0:1]
	v_add_f64 v[30:31], v[36:37], v[113:114]
	v_fma_f64 v[113:114], v[41:42], -0.5, v[2:3]
	v_fma_f64 v[0:1], v[122:123], s[0:1], v[39:40]
	v_fma_f64 v[32:33], v[122:123], s[4:5], v[39:40]
	;; [unrolled: 1-line block ×14, first 2 shown]
	v_and_b32_e32 v111, 0xff, v38
	v_fma_f64 v[38:39], v[126:127], s[4:5], v[77:78]
	v_fma_f64 v[44:45], v[128:129], s[0:1], v[104:105]
	;; [unrolled: 1-line block ×10, first 2 shown]
	v_mad_u64_u32 v[77:78], null, 0x60, v111, s[2:3]
	v_lshlrev_b32_e32 v139, 4, v79
	v_lshlrev_b32_e32 v138, 4, v160
	;; [unrolled: 1-line block ×6, first 2 shown]
	ds_write_b128 v140, v[8:11]
	ds_write_b128 v140, v[0:3] offset:64
	buffer_store_dword v140, off, s[40:43], 0 offset:672 ; 4-byte Folded Spill
	ds_write_b128 v140, v[32:35] offset:128
	ds_write_b128 v139, v[12:15]
	ds_write_b128 v139, v[36:39] offset:64
	buffer_store_dword v139, off, s[40:43], 0 offset:668 ; 4-byte Folded Spill
	ds_write_b128 v139, v[40:43] offset:128
	;; [unrolled: 4-line block ×7, first 2 shown]
	s_waitcnt lgkmcnt(0)
	s_waitcnt_vscnt null, 0x0
	s_barrier
	buffer_gl0_inv
	s_clause 0x3
	global_load_dwordx4 v[92:95], v[77:78], off offset:160
	global_load_dwordx4 v[52:55], v[77:78], off offset:176
	;; [unrolled: 1-line block ×4, first 2 shown]
	v_and_b32_e32 v0, 0xff, v157
	s_clause 0x1
	global_load_dwordx4 v[113:116], v[77:78], off offset:224
	global_load_dwordx4 v[117:120], v[77:78], off offset:240
	s_mov_b32 s0, 0x36b3c0b5
	s_mov_b32 s1, 0x3fac98ee
	v_mul_lo_u16 v0, 0xab, v0
	s_mov_b32 s4, 0x37c3f68c
	s_mov_b32 s5, 0x3fdc38aa
	v_lshrrev_b16 v108, 11, v0
	v_mul_lo_u16 v0, v108, 12
	v_sub_nc_u16 v0, v157, v0
	v_and_b32_e32 v109, 0xff, v0
	v_mad_u64_u32 v[77:78], null, 0x60, v109, s[2:3]
	s_clause 0x2
	global_load_dwordx4 v[104:107], v[77:78], off offset:160
	global_load_dwordx4 v[100:103], v[77:78], off offset:176
	;; [unrolled: 1-line block ×3, first 2 shown]
	ds_read_b128 v[4:7], v156 offset:2112
	ds_read_b128 v[8:11], v156 offset:4224
	;; [unrolled: 1-line block ×11, first 2 shown]
	s_waitcnt vmcnt(8) lgkmcnt(10)
	v_mul_f64 v[32:33], v[6:7], v[94:95]
	v_mul_f64 v[36:37], v[4:5], v[94:95]
	s_waitcnt vmcnt(7) lgkmcnt(9)
	v_mul_f64 v[38:39], v[10:11], v[54:55]
	v_mul_f64 v[40:41], v[8:9], v[54:55]
	s_waitcnt vmcnt(6) lgkmcnt(8)
	v_mul_f64 v[42:43], v[14:15], v[75:76]
	s_waitcnt vmcnt(5) lgkmcnt(7)
	v_mul_f64 v[46:47], v[18:19], v[71:72]
	v_mul_f64 v[44:45], v[12:13], v[75:76]
	;; [unrolled: 1-line block ×3, first 2 shown]
	s_waitcnt vmcnt(4) lgkmcnt(5)
	v_mul_f64 v[50:51], v[22:23], v[115:116]
	v_fma_f64 v[34:35], v[4:5], v[92:93], -v[32:33]
	buffer_store_dword v92, off, s[40:43], 0 offset:472 ; 4-byte Folded Spill
	buffer_store_dword v93, off, s[40:43], 0 offset:476 ; 4-byte Folded Spill
	buffer_store_dword v94, off, s[40:43], 0 offset:480 ; 4-byte Folded Spill
	buffer_store_dword v95, off, s[40:43], 0 offset:484 ; 4-byte Folded Spill
	v_fma_f64 v[38:39], v[8:9], v[52:53], -v[38:39]
	v_mul_f64 v[8:9], v[20:21], v[115:116]
	v_fma_f64 v[42:43], v[12:13], v[73:74], -v[42:43]
	v_fma_f64 v[46:47], v[16:17], v[69:70], -v[46:47]
	;; [unrolled: 1-line block ×3, first 2 shown]
	s_waitcnt vmcnt(1) lgkmcnt(4)
	v_mul_f64 v[16:17], v[26:27], v[102:103]
	v_add_f64 v[174:175], v[42:43], v[46:47]
	v_add_f64 v[42:43], v[46:47], -v[42:43]
	v_add_f64 v[176:177], v[38:39], v[50:51]
	v_add_f64 v[38:39], v[38:39], -v[50:51]
	v_add_f64 v[50:51], v[174:175], -v[176:177]
	v_fma_f64 v[32:33], v[6:7], v[92:93], v[36:37]
	ds_read_b128 v[4:7], v156 offset:9856
	buffer_store_dword v52, off, s[40:43], 0 offset:456 ; 4-byte Folded Spill
	buffer_store_dword v53, off, s[40:43], 0 offset:460 ; 4-byte Folded Spill
	;; [unrolled: 1-line block ×12, first 2 shown]
	v_fma_f64 v[36:37], v[10:11], v[52:53], v[40:41]
	s_waitcnt lgkmcnt(4)
	v_mul_f64 v[52:53], v[30:31], v[119:120]
	ds_read_b128 v[10:13], v156 offset:2816
	buffer_store_dword v113, off, s[40:43], 0 offset:536 ; 4-byte Folded Spill
	buffer_store_dword v114, off, s[40:43], 0 offset:540 ; 4-byte Folded Spill
	;; [unrolled: 1-line block ×4, first 2 shown]
	v_fma_f64 v[40:41], v[14:15], v[73:74], v[44:45]
	v_mul_f64 v[14:15], v[28:29], v[119:120]
	v_fma_f64 v[44:45], v[18:19], v[69:70], v[48:49]
	ds_read_b128 v[69:72], v156 offset:3520
	v_fma_f64 v[54:55], v[28:29], v[117:118], -v[52:53]
	buffer_store_dword v117, off, s[40:43], 0 offset:552 ; 4-byte Folded Spill
	buffer_store_dword v118, off, s[40:43], 0 offset:556 ; 4-byte Folded Spill
	;; [unrolled: 1-line block ×4, first 2 shown]
	v_mov_b32_e32 v119, v164
	v_add_f64 v[180:181], v[40:41], v[44:45]
	v_add_f64 v[40:41], v[44:45], -v[40:41]
	v_add_f64 v[172:173], v[34:35], v[54:55]
	v_add_f64 v[46:47], v[34:35], -v[54:55]
	v_add_f64 v[134:135], v[46:47], -v[42:43]
	v_fma_f64 v[48:49], v[22:23], v[113:114], v[8:9]
	s_waitcnt lgkmcnt(1)
	v_mul_f64 v[8:9], v[12:13], v[106:107]
	v_mov_b32_e32 v114, 0x54
	v_fma_f64 v[52:53], v[30:31], v[117:118], v[14:15]
	v_mul_f64 v[14:15], v[10:11], v[106:107]
	v_fma_f64 v[10:11], v[10:11], v[104:105], -v[8:9]
	buffer_store_dword v104, off, s[40:43], 0 offset:520 ; 4-byte Folded Spill
	buffer_store_dword v105, off, s[40:43], 0 offset:524 ; 4-byte Folded Spill
	buffer_store_dword v106, off, s[40:43], 0 offset:528 ; 4-byte Folded Spill
	buffer_store_dword v107, off, s[40:43], 0 offset:532 ; 4-byte Folded Spill
	v_add_f64 v[182:183], v[36:37], v[48:49]
	v_add_f64 v[34:35], v[36:37], -v[48:49]
	v_add_f64 v[36:37], v[42:43], -v[38:39]
	;; [unrolled: 1-line block ×3, first 2 shown]
	v_add_f64 v[178:179], v[32:33], v[52:53]
	v_add_f64 v[44:45], v[32:33], -v[52:53]
	v_add_f64 v[32:33], v[42:43], v[38:39]
	v_add_f64 v[54:55], v[180:181], -v[182:183]
	v_add_f64 v[115:116], v[40:41], -v[34:35]
	v_mul_f64 v[128:129], v[36:37], s[18:19]
	v_add_f64 v[52:53], v[182:183], -v[178:179]
	v_add_f64 v[117:118], v[34:35], -v[44:45]
	v_add_f64 v[124:125], v[32:33], v[46:47]
	v_mul_f64 v[32:33], v[50:51], s[0:1]
	v_add_f64 v[136:137], v[44:45], -v[40:41]
	v_mul_f64 v[115:116], v[115:116], s[18:19]
	v_mul_f64 v[42:43], v[117:118], s[14:15]
	v_fma_f64 v[32:33], v[48:49], s[16:17], -v[32:33]
	v_fma_f64 v[42:43], v[136:137], s[26:27], -v[42:43]
	v_fma_f64 v[8:9], v[12:13], v[104:105], v[14:15]
	v_mul_f64 v[12:13], v[24:25], v[102:103]
	v_fma_f64 v[14:15], v[24:25], v[100:101], -v[16:17]
	buffer_store_dword v100, off, s[40:43], 0 offset:504 ; 4-byte Folded Spill
	buffer_store_dword v101, off, s[40:43], 0 offset:508 ; 4-byte Folded Spill
	;; [unrolled: 1-line block ×4, first 2 shown]
	ds_read_b128 v[20:23], v156 offset:7040
	ds_read_b128 v[73:76], v156 offset:7744
	s_waitcnt vmcnt(0) lgkmcnt(1)
	v_mul_f64 v[16:17], v[22:23], v[98:99]
	v_fma_f64 v[18:19], v[20:21], v[96:97], -v[16:17]
	v_mul_f64 v[16:17], v[20:21], v[98:99]
	buffer_store_dword v96, off, s[40:43], 0 offset:488 ; 4-byte Folded Spill
	buffer_store_dword v97, off, s[40:43], 0 offset:492 ; 4-byte Folded Spill
	;; [unrolled: 1-line block ×4, first 2 shown]
	v_fma_f64 v[12:13], v[26:27], v[100:101], v[12:13]
	global_load_dwordx4 v[24:27], v[77:78], off offset:208
	v_fma_f64 v[16:17], v[22:23], v[96:97], v[16:17]
	s_waitcnt vmcnt(0)
	v_mul_f64 v[20:21], v[58:59], v[26:27]
	v_fma_f64 v[22:23], v[56:57], v[24:25], -v[20:21]
	v_mul_f64 v[20:21], v[56:57], v[26:27]
	buffer_store_dword v24, off, s[40:43], 0 offset:568 ; 4-byte Folded Spill
	buffer_store_dword v25, off, s[40:43], 0 offset:572 ; 4-byte Folded Spill
	;; [unrolled: 1-line block ×4, first 2 shown]
	v_add_f64 v[190:191], v[18:19], v[22:23]
	v_fma_f64 v[20:21], v[58:59], v[24:25], v[20:21]
	global_load_dwordx4 v[56:59], v[77:78], off offset:224
	ds_read_b128 v[28:31], v156 offset:11264
	ds_read_b128 v[92:95], v156 offset:11968
	v_add_f64 v[196:197], v[16:17], v[20:21]
	s_waitcnt vmcnt(0) lgkmcnt(1)
	v_mul_f64 v[24:25], v[30:31], v[58:59]
	v_fma_f64 v[26:27], v[28:29], v[56:57], -v[24:25]
	v_mul_f64 v[24:25], v[28:29], v[58:59]
	buffer_store_dword v56, off, s[40:43], 0 offset:584 ; 4-byte Folded Spill
	buffer_store_dword v57, off, s[40:43], 0 offset:588 ; 4-byte Folded Spill
	;; [unrolled: 1-line block ×4, first 2 shown]
	v_add_f64 v[192:193], v[14:15], v[26:27]
	v_fma_f64 v[24:25], v[30:31], v[56:57], v[24:25]
	global_load_dwordx4 v[56:59], v[77:78], off offset:240
	s_waitcnt vmcnt(0)
	v_mul_f64 v[28:29], v[62:63], v[58:59]
	v_fma_f64 v[30:31], v[60:61], v[56:57], -v[28:29]
	v_mul_f64 v[28:29], v[60:61], v[58:59]
	buffer_store_dword v56, off, s[40:43], 0 offset:600 ; 4-byte Folded Spill
	buffer_store_dword v57, off, s[40:43], 0 offset:604 ; 4-byte Folded Spill
	;; [unrolled: 1-line block ×4, first 2 shown]
	v_add_f64 v[188:189], v[10:11], v[30:31]
	v_fma_f64 v[28:29], v[62:63], v[56:57], v[28:29]
	v_and_b32_e32 v56, 0xff, v68
	v_mul_lo_u16 v56, 0xab, v56
	v_lshrrev_b16 v110, 11, v56
	v_mul_lo_u16 v56, v110, 12
	v_sub_nc_u16 v56, v68, v56
	v_add_f64 v[194:195], v[8:9], v[28:29]
	v_and_b32_e32 v113, 0xff, v56
	v_mad_u64_u32 v[77:78], null, 0x60, v113, s[2:3]
	s_clause 0x1
	global_load_dwordx4 v[160:163], v[77:78], off offset:160
	global_load_dwordx4 v[120:123], v[77:78], off offset:176
	s_waitcnt vmcnt(1)
	v_mul_f64 v[56:57], v[71:72], v[162:163]
	s_waitcnt vmcnt(0)
	v_mul_f64 v[60:61], v[66:67], v[122:123]
	v_fma_f64 v[58:59], v[69:70], v[160:161], -v[56:57]
	v_mul_f64 v[56:57], v[69:70], v[162:163]
	v_fma_f64 v[62:63], v[64:65], v[120:121], -v[60:61]
	v_mul_f64 v[60:61], v[64:65], v[122:123]
	v_fma_f64 v[56:57], v[71:72], v[160:161], v[56:57]
	global_load_dwordx4 v[68:71], v[77:78], off offset:192
	v_fma_f64 v[60:61], v[66:67], v[120:121], v[60:61]
	s_waitcnt vmcnt(0)
	v_mul_f64 v[64:65], v[75:76], v[70:71]
	v_fma_f64 v[66:67], v[73:74], v[68:69], -v[64:65]
	v_mul_f64 v[64:65], v[73:74], v[70:71]
	buffer_store_dword v68, off, s[40:43], 0 offset:632 ; 4-byte Folded Spill
	buffer_store_dword v69, off, s[40:43], 0 offset:636 ; 4-byte Folded Spill
	;; [unrolled: 1-line block ×4, first 2 shown]
	v_fma_f64 v[64:65], v[75:76], v[68:69], v[64:65]
	global_load_dwordx4 v[72:75], v[77:78], off offset:208
	s_waitcnt vmcnt(0)
	v_mul_f64 v[68:69], v[6:7], v[74:75]
	v_fma_f64 v[70:71], v[4:5], v[72:73], -v[68:69]
	v_mul_f64 v[4:5], v[4:5], v[74:75]
	buffer_store_dword v72, off, s[40:43], 0 offset:616 ; 4-byte Folded Spill
	buffer_store_dword v73, off, s[40:43], 0 offset:620 ; 4-byte Folded Spill
	;; [unrolled: 1-line block ×4, first 2 shown]
	s_clause 0x1
	global_load_dwordx4 v[152:155], v[77:78], off offset:224
	global_load_dwordx4 v[148:151], v[77:78], off offset:240
	v_fma_f64 v[68:69], v[6:7], v[72:73], v[4:5]
	s_waitcnt vmcnt(1) lgkmcnt(0)
	v_mul_f64 v[4:5], v[94:95], v[154:155]
	v_add_f64 v[102:103], v[64:65], v[68:69]
	v_fma_f64 v[74:75], v[92:93], v[152:153], -v[4:5]
	v_mul_f64 v[4:5], v[92:93], v[154:155]
	v_add_f64 v[92:93], v[12:13], v[24:25]
	v_add_f64 v[98:99], v[62:63], v[74:75]
	v_fma_f64 v[72:73], v[94:95], v[152:153], v[4:5]
	ds_read_b128 v[4:7], v156 offset:14080
	s_waitcnt vmcnt(0) lgkmcnt(0)
	v_mul_f64 v[76:77], v[6:7], v[150:151]
	v_add_f64 v[202:203], v[60:61], v[72:73]
	v_fma_f64 v[78:79], v[4:5], v[148:149], -v[76:77]
	v_mul_f64 v[4:5], v[4:5], v[150:151]
	v_fma_f64 v[76:77], v[6:7], v[148:149], v[4:5]
	v_add_f64 v[4:5], v[176:177], v[172:173]
	v_add_f64 v[184:185], v[174:175], v[4:5]
	;; [unrolled: 1-line block ×4, first 2 shown]
	ds_read_b128 v[4:7], v156
	ds_read_b128 v[94:97], v156 offset:704
	s_waitcnt lgkmcnt(0)
	s_waitcnt_vscnt null, 0x0
	s_barrier
	buffer_gl0_inv
	v_add_f64 v[168:169], v[4:5], v[184:185]
	v_add_f64 v[4:5], v[192:193], v[188:189]
	;; [unrolled: 1-line block ×14, first 2 shown]
	v_mul_u32_u24_sdwa v0, v112, v114 dst_sel:DWORD dst_unused:UNUSED_PAD src0_sel:WORD_0 src1_sel:DWORD
	v_add_f64 v[106:107], v[202:203], v[100:101]
	v_add_lshl_u32 v138, v0, v111, 4
	v_add_f64 v[111:112], v[38:39], -v[46:47]
	v_add_f64 v[38:39], v[40:41], v[34:35]
	v_mul_f64 v[34:35], v[54:55], s[0:1]
	v_fma_f64 v[0:1], v[184:185], s[12:13], v[168:169]
	ds_write_b128 v138, v[168:171]
	v_add_f64 v[106:107], v[102:103], v[106:107]
	v_fma_f64 v[36:37], v[111:112], s[14:15], -v[128:129]
	v_add_f64 v[126:127], v[38:39], v[44:45]
	v_fma_f64 v[34:35], v[52:53], s[16:17], -v[34:35]
	v_add_f64 v[130:131], v[32:33], v[0:1]
	v_mul_f64 v[40:41], v[111:112], s[14:15]
	v_add_f64 v[166:167], v[2:3], v[106:107]
	v_fma_f64 v[2:3], v[186:187], s[12:13], v[170:171]
	v_fma_f64 v[38:39], v[124:125], s[4:5], v[36:37]
	v_fma_f64 v[36:37], v[117:118], s[14:15], -v[115:116]
	v_fma_f64 v[40:41], v[134:135], s[26:27], -v[40:41]
	v_add_f64 v[132:133], v[34:35], v[2:3]
	v_fma_f64 v[36:37], v[126:127], s[4:5], v[36:37]
	v_add_f64 v[34:35], v[38:39], v[132:133]
	v_add_f64 v[38:39], v[132:133], -v[38:39]
	v_add_f64 v[132:133], v[178:179], -v[180:181]
	;; [unrolled: 1-line block ×3, first 2 shown]
	v_add_f64 v[36:37], v[36:37], v[130:131]
	v_add_f64 v[130:131], v[172:173], -v[174:175]
	v_mul_f64 v[117:118], v[132:133], s[22:23]
	v_mul_f64 v[111:112], v[130:131], s[22:23]
	v_fma_f64 v[46:47], v[52:53], s[24:25], -v[117:118]
	v_fma_f64 v[52:53], v[126:127], s[4:5], v[42:43]
	v_fma_f64 v[54:55], v[54:55], s[0:1], v[117:118]
	;; [unrolled: 1-line block ×3, first 2 shown]
	v_fma_f64 v[44:45], v[48:49], s[24:25], -v[111:112]
	v_fma_f64 v[48:49], v[124:125], s[4:5], v[40:41]
	v_fma_f64 v[50:51], v[50:51], s[0:1], v[111:112]
	v_add_f64 v[46:47], v[46:47], v[2:3]
	v_add_f64 v[2:3], v[54:55], v[2:3]
	;; [unrolled: 1-line block ×4, first 2 shown]
	v_add_f64 v[42:43], v[46:47], -v[48:49]
	v_add_f64 v[46:47], v[48:49], v[46:47]
	v_fma_f64 v[48:49], v[134:135], s[20:21], v[128:129]
	v_add_f64 v[40:41], v[52:53], v[44:45]
	v_add_f64 v[44:45], v[44:45], -v[52:53]
	v_fma_f64 v[52:53], v[136:137], s[20:21], v[115:116]
	v_fma_f64 v[115:116], v[198:199], s[12:13], v[4:5]
	;; [unrolled: 1-line block ×4, first 2 shown]
	v_add_f64 v[50:51], v[2:3], -v[111:112]
	v_add_f64 v[54:55], v[111:112], v[2:3]
	v_add_f64 v[2:3], v[22:23], -v[18:19]
	v_add_f64 v[18:19], v[192:193], -v[188:189]
	;; [unrolled: 1-line block ×3, first 2 shown]
	v_add_f64 v[48:49], v[52:53], v[0:1]
	v_add_f64 v[52:53], v[0:1], -v[52:53]
	v_add_f64 v[0:1], v[14:15], -v[26:27]
	v_add_f64 v[14:15], v[10:11], -v[30:31]
	v_add_f64 v[10:11], v[12:13], -v[24:25]
	v_add_f64 v[12:13], v[20:21], -v[16:17]
	v_add_f64 v[16:17], v[8:9], -v[28:29]
	v_add_f64 v[20:21], v[190:191], -v[192:193]
	v_add_f64 v[24:25], v[196:197], -v[92:93]
	ds_write_b128 v138, v[48:51] offset:192
	ds_write_b128 v138, v[40:43] offset:384
	;; [unrolled: 1-line block ×5, first 2 shown]
	buffer_store_dword v138, off, s[40:43], 0 offset:676 ; 4-byte Folded Spill
	v_add_f64 v[8:9], v[2:3], v[0:1]
	v_add_f64 v[26:27], v[2:3], -v[0:1]
	v_add_f64 v[0:1], v[0:1], -v[14:15]
	;; [unrolled: 1-line block ×3, first 2 shown]
	v_add_f64 v[28:29], v[12:13], v[10:11]
	v_add_f64 v[92:93], v[10:11], -v[16:17]
	v_mul_f64 v[10:11], v[24:25], s[0:1]
	v_add_f64 v[2:3], v[14:15], -v[2:3]
	ds_write_b128 v138, v[52:55] offset:1152
	v_add_f64 v[111:112], v[8:9], v[14:15]
	v_mul_f64 v[26:27], v[26:27], s[18:19]
	v_mul_f64 v[8:9], v[20:21], s[0:1]
	;; [unrolled: 1-line block ×3, first 2 shown]
	v_add_f64 v[28:29], v[28:29], v[16:17]
	v_add_f64 v[16:17], v[16:17], -v[12:13]
	v_fma_f64 v[10:11], v[22:23], s[16:17], -v[10:11]
	v_mul_f64 v[12:13], v[92:93], s[14:15]
	v_fma_f64 v[124:125], v[0:1], s[14:15], -v[26:27]
	v_fma_f64 v[8:9], v[18:19], s[16:17], -v[8:9]
	v_fma_f64 v[126:127], v[92:93], s[14:15], -v[30:31]
	v_mul_f64 v[0:1], v[0:1], s[14:15]
	v_add_f64 v[130:131], v[10:11], v[117:118]
	v_fma_f64 v[12:13], v[16:17], s[26:27], -v[12:13]
	v_fma_f64 v[124:125], v[111:112], s[4:5], v[124:125]
	v_add_f64 v[128:129], v[8:9], v[115:116]
	v_fma_f64 v[126:127], v[28:29], s[4:5], v[126:127]
	v_fma_f64 v[0:1], v[2:3], s[26:27], -v[0:1]
	v_add_f64 v[10:11], v[124:125], v[130:131]
	v_add_f64 v[250:251], v[130:131], -v[124:125]
	v_add_f64 v[8:9], v[128:129], -v[126:127]
	v_add_f64 v[248:249], v[126:127], v[128:129]
	v_add_f64 v[124:125], v[188:189], -v[190:191]
	v_add_f64 v[126:127], v[194:195], -v[196:197]
	v_fma_f64 v[0:1], v[111:112], s[4:5], v[0:1]
	v_mul_f64 v[92:93], v[124:125], s[22:23]
	v_mul_f64 v[124:125], v[126:127], s[22:23]
	v_fma_f64 v[14:15], v[18:19], s[24:25], -v[92:93]
	v_fma_f64 v[18:19], v[22:23], s[24:25], -v[124:125]
	v_fma_f64 v[22:23], v[28:29], s[4:5], v[12:13]
	v_add_f64 v[126:127], v[14:15], v[115:116]
	v_add_f64 v[18:19], v[18:19], v[117:118]
	;; [unrolled: 1-line block ×3, first 2 shown]
	v_add_f64 v[14:15], v[18:19], -v[0:1]
	v_add_f64 v[170:171], v[0:1], v[18:19]
	v_fma_f64 v[0:1], v[2:3], s[20:21], v[26:27]
	v_fma_f64 v[2:3], v[16:17], s[20:21], v[30:31]
	;; [unrolled: 1-line block ×4, first 2 shown]
	v_add_f64 v[168:169], v[126:127], -v[22:23]
	v_add_f64 v[24:25], v[68:69], -v[64:65]
	;; [unrolled: 1-line block ×5, first 2 shown]
	v_fma_f64 v[0:1], v[111:112], s[4:5], v[0:1]
	v_fma_f64 v[2:3], v[28:29], s[4:5], v[2:3]
	v_add_f64 v[20:21], v[16:17], v[115:116]
	v_add_f64 v[22:23], v[18:19], v[117:118]
	v_add_f64 v[28:29], v[98:99], -v[94:95]
	v_mul_f64 v[68:69], v[30:31], s[0:1]
	v_add_f64 v[16:17], v[2:3], v[20:21]
	v_add_f64 v[18:19], v[22:23], -v[0:1]
	v_add_f64 v[172:173], v[20:21], -v[2:3]
	v_add_f64 v[174:175], v[0:1], v[22:23]
	v_add_f64 v[0:1], v[62:63], -v[74:75]
	v_add_f64 v[2:3], v[70:71], -v[66:67]
	;; [unrolled: 1-line block ×5, first 2 shown]
	v_fma_f64 v[68:69], v[28:29], s[16:17], -v[68:69]
	v_fma_f64 v[72:73], v[104:105], s[12:13], v[164:165]
	v_fma_f64 v[74:75], v[106:107], s[12:13], v[166:167]
	v_add_f64 v[62:63], v[2:3], -v[0:1]
	v_add_f64 v[66:67], v[24:25], -v[22:23]
	v_add_f64 v[60:61], v[2:3], v[0:1]
	v_add_f64 v[0:1], v[0:1], -v[20:21]
	v_add_f64 v[64:65], v[24:25], v[22:23]
	v_add_f64 v[22:23], v[22:23], -v[26:27]
	v_mul_f64 v[70:71], v[58:59], s[0:1]
	v_add_f64 v[68:69], v[68:69], v[72:73]
	v_add_f64 v[2:3], v[20:21], -v[2:3]
	v_mul_f64 v[62:63], v[62:63], s[18:19]
	v_mul_f64 v[66:67], v[66:67], s[18:19]
	v_add_f64 v[60:61], v[60:61], v[20:21]
	v_add_f64 v[20:21], v[26:27], -v[24:25]
	v_add_f64 v[64:65], v[64:65], v[26:27]
	v_fma_f64 v[70:71], v[56:57], s[16:17], -v[70:71]
	v_fma_f64 v[76:77], v[0:1], s[14:15], -v[62:63]
	;; [unrolled: 1-line block ×3, first 2 shown]
	v_mul_f64 v[0:1], v[0:1], s[14:15]
	v_mul_f64 v[22:23], v[22:23], s[14:15]
	v_add_f64 v[70:71], v[70:71], v[74:75]
	v_fma_f64 v[76:77], v[60:61], s[4:5], v[76:77]
	v_fma_f64 v[78:79], v[64:65], s[4:5], v[78:79]
	v_fma_f64 v[0:1], v[2:3], s[26:27], -v[0:1]
	v_fma_f64 v[22:23], v[20:21], s[26:27], -v[22:23]
	v_add_f64 v[178:179], v[76:77], v[70:71]
	v_add_f64 v[176:177], v[68:69], -v[78:79]
	v_add_f64 v[196:197], v[78:79], v[68:69]
	v_add_f64 v[198:199], v[70:71], -v[76:77]
	v_add_f64 v[68:69], v[94:95], -v[96:97]
	;; [unrolled: 1-line block ×3, first 2 shown]
	v_fma_f64 v[0:1], v[60:61], s[4:5], v[0:1]
	v_fma_f64 v[22:23], v[64:65], s[4:5], v[22:23]
	v_mul_f64 v[24:25], v[68:69], s[22:23]
	v_mul_f64 v[26:27], v[70:71], s[22:23]
	v_fma_f64 v[28:29], v[28:29], s[24:25], -v[24:25]
	v_fma_f64 v[56:57], v[56:57], s[24:25], -v[26:27]
	v_add_f64 v[28:29], v[28:29], v[72:73]
	v_add_f64 v[56:57], v[56:57], v[74:75]
	v_add_f64 v[192:193], v[22:23], v[28:29]
	v_add_f64 v[194:195], v[56:57], -v[0:1]
	v_add_f64 v[200:201], v[28:29], -v[22:23]
	v_add_f64 v[202:203], v[0:1], v[56:57]
	v_fma_f64 v[0:1], v[2:3], s[20:21], v[62:63]
	v_fma_f64 v[2:3], v[20:21], s[20:21], v[66:67]
	;; [unrolled: 1-line block ×4, first 2 shown]
	v_cmp_gt_u16_e64 s0, 40, v119
	v_fma_f64 v[24:25], v[60:61], s[4:5], v[0:1]
	v_fma_f64 v[26:27], v[64:65], s[4:5], v[2:3]
	v_add_f64 v[20:21], v[20:21], v[72:73]
	v_add_f64 v[22:23], v[22:23], v[74:75]
	v_add_f64 v[252:253], v[20:21], -v[26:27]
	v_add_f64 v[254:255], v[24:25], v[22:23]
	v_add_f64 v[0:1], v[26:27], v[20:21]
	v_add_f64 v[2:3], v[22:23], -v[24:25]
	v_mul_u32_u24_sdwa v20, v108, v114 dst_sel:DWORD dst_unused:UNUSED_PAD src0_sel:WORD_0 src1_sel:DWORD
	v_add_lshl_u32 v20, v20, v109, 4
	ds_write_b128 v20, v[4:7]
	ds_write_b128 v20, v[16:19] offset:192
	ds_write_b128 v20, v[12:15] offset:384
	;; [unrolled: 1-line block ×3, first 2 shown]
	v_mul_u32_u24_sdwa v4, v110, v114 dst_sel:DWORD dst_unused:UNUSED_PAD src0_sel:WORD_0 src1_sel:DWORD
	buffer_store_dword v119, off, s[40:43], 0 ; 4-byte Folded Spill
	ds_write_b128 v20, v[248:251] offset:768
	ds_write_b128 v20, v[168:171] offset:960
	buffer_store_dword v20, off, s[40:43], 0 offset:680 ; 4-byte Folded Spill
	v_add_lshl_u32 v4, v4, v113, 4
	ds_write_b128 v20, v[172:175] offset:1152
	ds_write_b128 v4, v[164:167]
	ds_write_b128 v4, v[0:3] offset:192
	ds_write_b128 v4, v[192:195] offset:384
	ds_write_b128 v4, v[176:179] offset:576
	ds_write_b128 v4, v[196:199] offset:768
	ds_write_b128 v4, v[200:203] offset:960
	buffer_store_dword v4, off, s[40:43], 0 offset:684 ; 4-byte Folded Spill
	ds_write_b128 v4, v[252:255] offset:1152
	s_waitcnt lgkmcnt(0)
	s_waitcnt_vscnt null, 0x0
	s_barrier
	buffer_gl0_inv
	ds_read_b128 v[4:7], v156
	ds_read_b128 v[12:15], v156 offset:1344
	ds_read_b128 v[8:11], v156 offset:2688
	;; [unrolled: 1-line block ×10, first 2 shown]
	s_and_saveexec_b32 s1, s0
	s_cbranch_execz .LBB0_13
; %bb.12:
	ds_read_b128 v[248:251], v156 offset:704
	ds_read_b128 v[168:171], v156 offset:2048
	ds_read_b128 v[172:175], v156 offset:3392
	ds_read_b128 v[164:167], v156 offset:4736
	ds_read_b128 v[0:3], v156 offset:6080
	ds_read_b128 v[192:195], v156 offset:7424
	ds_read_b128 v[176:179], v156 offset:8768
	ds_read_b128 v[196:199], v156 offset:10112
	ds_read_b128 v[200:203], v156 offset:11456
	ds_read_b128 v[252:255], v156 offset:12800
	ds_read_b128 v[244:247], v156 offset:14144
.LBB0_13:
	s_or_b32 exec_lo, exec_lo, s1
	buffer_load_dword v28, off, s[40:43], 0 ; 4-byte Folded Reload
	s_mov_b32 s24, 0xf8bb580b
	s_mov_b32 s16, 0x8eee2c13
	;; [unrolled: 1-line block ×26, first 2 shown]
	s_waitcnt vmcnt(0)
	v_mad_u64_u32 v[20:21], null, 0xa0, v28, s[2:3]
	s_clause 0x5
	global_load_dwordx4 v[204:207], v[20:21], off offset:1312
	global_load_dwordx4 v[216:219], v[20:21], off offset:1456
	;; [unrolled: 1-line block ×6, first 2 shown]
	s_waitcnt vmcnt(5) lgkmcnt(9)
	v_mul_f64 v[22:23], v[12:13], v[206:207]
	v_mul_f64 v[24:25], v[14:15], v[206:207]
	s_waitcnt vmcnt(4) lgkmcnt(0)
	v_mul_f64 v[26:27], v[16:17], v[218:219]
	v_fma_f64 v[14:15], v[14:15], v[204:205], v[22:23]
	v_fma_f64 v[12:13], v[12:13], v[204:205], -v[24:25]
	v_mul_f64 v[22:23], v[18:19], v[218:219]
	s_waitcnt vmcnt(3)
	v_mul_f64 v[24:25], v[10:11], v[238:239]
	v_fma_f64 v[52:53], v[18:19], v[216:217], v[26:27]
	s_waitcnt vmcnt(2)
	v_mul_f64 v[18:19], v[226:227], v[214:215]
	v_fma_f64 v[54:55], v[16:17], v[216:217], -v[22:23]
	v_mul_f64 v[16:17], v[8:9], v[238:239]
	v_fma_f64 v[56:57], v[8:9], v[236:237], -v[24:25]
	;; [unrolled: 2-line block ×3, first 2 shown]
	v_add_f64 v[114:115], v[14:15], v[52:53]
	v_fma_f64 v[58:59], v[10:11], v[236:237], v[16:17]
	s_waitcnt vmcnt(1)
	v_mul_f64 v[10:11], v[222:223], v[210:211]
	v_fma_f64 v[62:63], v[226:227], v[212:213], v[8:9]
	v_mul_f64 v[8:9], v[220:221], v[210:211]
	v_fma_f64 v[64:65], v[220:221], v[208:209], -v[10:11]
	v_fma_f64 v[66:67], v[222:223], v[208:209], v[8:9]
	s_clause 0x1
	global_load_dwordx4 v[224:227], v[20:21], off offset:1376
	global_load_dwordx4 v[220:223], v[20:21], off offset:1392
	s_waitcnt vmcnt(1)
	v_mul_f64 v[8:9], v[242:243], v[226:227]
	v_fma_f64 v[70:71], v[240:241], v[224:225], -v[8:9]
	v_mul_f64 v[8:9], v[240:241], v[226:227]
	v_fma_f64 v[72:73], v[242:243], v[224:225], v[8:9]
	s_waitcnt vmcnt(0)
	v_mul_f64 v[8:9], v[230:231], v[222:223]
	v_fma_f64 v[74:75], v[228:229], v[220:221], -v[8:9]
	v_mul_f64 v[8:9], v[228:229], v[222:223]
	v_fma_f64 v[76:77], v[230:231], v[220:221], v[8:9]
	s_clause 0x1
	global_load_dwordx4 v[228:231], v[20:21], off offset:1408
	global_load_dwordx4 v[240:243], v[20:21], off offset:1424
	v_mul_f64 v[8:9], v[188:189], v[234:235]
	v_fma_f64 v[68:69], v[190:191], v[232:233], v[8:9]
	v_mul_f64 v[8:9], v[190:191], v[234:235]
	v_add_f64 v[142:143], v[58:59], -v[68:69]
	v_fma_f64 v[78:79], v[188:189], v[232:233], -v[8:9]
	v_add_f64 v[146:147], v[56:57], v[78:79]
	s_waitcnt vmcnt(1)
	v_mul_f64 v[8:9], v[186:187], v[230:231]
	v_fma_f64 v[188:189], v[184:185], v[228:229], -v[8:9]
	v_mul_f64 v[8:9], v[184:185], v[230:231]
	v_fma_f64 v[190:191], v[186:187], v[228:229], v[8:9]
	s_waitcnt vmcnt(0)
	v_mul_f64 v[8:9], v[182:183], v[242:243]
	v_fma_f64 v[184:185], v[180:181], v[240:241], -v[8:9]
	v_mul_f64 v[8:9], v[180:181], v[242:243]
	v_add_f64 v[180:181], v[64:65], -v[188:189]
	v_fma_f64 v[186:187], v[182:183], v[240:241], v[8:9]
	v_subrev_nc_u32_e32 v8, 40, v28
	v_add_f64 v[182:183], v[66:67], v[190:191]
	v_cndmask_b32_e64 v8, v8, v157, s0
	v_mul_i32_i24_e32 v9, 0xa0, v8
	v_mul_hi_i32_i24_e32 v10, 0xa0, v8
	v_add_co_u32 v8, s1, s2, v9
	v_add_co_ci_u32_e64 v9, s1, s3, v10, s1
	s_clause 0x1
	global_load_dwordx4 v[20:23], v[8:9], off offset:1312
	global_load_dwordx4 v[16:19], v[8:9], off offset:1328
	s_mov_b32 s2, 0x7f775887
	s_mov_b32 s3, 0xbfe4f49e
	s_waitcnt vmcnt(1)
	v_mul_f64 v[10:11], v[170:171], v[22:23]
	v_fma_f64 v[48:49], v[168:169], v[20:21], -v[10:11]
	v_mul_f64 v[10:11], v[168:169], v[22:23]
	buffer_store_dword v20, off, s[40:43], 0 offset:792 ; 4-byte Folded Spill
	buffer_store_dword v21, off, s[40:43], 0 offset:796 ; 4-byte Folded Spill
	;; [unrolled: 1-line block ×4, first 2 shown]
	v_add_f64 v[168:169], v[62:63], -v[186:187]
	v_fma_f64 v[50:51], v[170:171], v[20:21], v[10:11]
	s_waitcnt vmcnt(0)
	v_mul_f64 v[10:11], v[174:175], v[18:19]
	v_add_f64 v[170:171], v[60:61], v[184:185]
	v_fma_f64 v[40:41], v[172:173], v[16:17], -v[10:11]
	v_mul_f64 v[10:11], v[172:173], v[18:19]
	buffer_store_dword v16, off, s[40:43], 0 offset:760 ; 4-byte Folded Spill
	buffer_store_dword v17, off, s[40:43], 0 offset:764 ; 4-byte Folded Spill
	;; [unrolled: 1-line block ×4, first 2 shown]
	v_add_f64 v[172:173], v[60:61], -v[184:185]
	v_fma_f64 v[42:43], v[174:175], v[16:17], v[10:11]
	s_clause 0x1
	global_load_dwordx4 v[20:23], v[8:9], off offset:1344
	global_load_dwordx4 v[16:19], v[8:9], off offset:1360
	v_add_f64 v[174:175], v[62:63], v[186:187]
	s_waitcnt vmcnt(1)
	v_mul_f64 v[10:11], v[166:167], v[22:23]
	v_fma_f64 v[44:45], v[164:165], v[20:21], -v[10:11]
	v_mul_f64 v[10:11], v[164:165], v[22:23]
	buffer_store_dword v20, off, s[40:43], 0 offset:776 ; 4-byte Folded Spill
	buffer_store_dword v21, off, s[40:43], 0 offset:780 ; 4-byte Folded Spill
	;; [unrolled: 1-line block ×4, first 2 shown]
	v_add_f64 v[164:165], v[56:57], -v[78:79]
	v_fma_f64 v[46:47], v[166:167], v[20:21], v[10:11]
	s_waitcnt vmcnt(0)
	v_mul_f64 v[10:11], v[2:3], v[18:19]
	v_add_f64 v[166:167], v[58:59], v[68:69]
	v_fma_f64 v[36:37], v[0:1], v[16:17], -v[10:11]
	v_mul_f64 v[0:1], v[0:1], v[18:19]
	buffer_store_dword v16, off, s[40:43], 0 offset:728 ; 4-byte Folded Spill
	buffer_store_dword v17, off, s[40:43], 0 offset:732 ; 4-byte Folded Spill
	;; [unrolled: 1-line block ×4, first 2 shown]
	v_fma_f64 v[38:39], v[2:3], v[16:17], v[0:1]
	s_clause 0x1
	global_load_dwordx4 v[16:19], v[8:9], off offset:1376
	global_load_dwordx4 v[20:23], v[8:9], off offset:1392
	s_waitcnt vmcnt(1)
	v_mul_f64 v[0:1], v[194:195], v[18:19]
	v_fma_f64 v[32:33], v[192:193], v[16:17], -v[0:1]
	v_mul_f64 v[0:1], v[192:193], v[18:19]
	buffer_store_dword v16, off, s[40:43], 0 offset:696 ; 4-byte Folded Spill
	buffer_store_dword v17, off, s[40:43], 0 offset:700 ; 4-byte Folded Spill
	;; [unrolled: 1-line block ×4, first 2 shown]
	v_add_f64 v[192:193], v[72:73], -v[76:77]
	v_fma_f64 v[34:35], v[194:195], v[16:17], v[0:1]
	s_waitcnt vmcnt(0)
	v_mul_f64 v[0:1], v[178:179], v[22:23]
	v_add_f64 v[194:195], v[70:71], v[74:75]
	v_fma_f64 v[24:25], v[176:177], v[20:21], -v[0:1]
	v_mul_f64 v[0:1], v[176:177], v[22:23]
	buffer_store_dword v20, off, s[40:43], 0 offset:712 ; 4-byte Folded Spill
	buffer_store_dword v21, off, s[40:43], 0 offset:716 ; 4-byte Folded Spill
	;; [unrolled: 1-line block ×4, first 2 shown]
	s_clause 0x1
	global_load_dwordx4 v[16:19], v[8:9], off offset:1408
	global_load_dwordx4 v[92:95], v[8:9], off offset:1424
	v_add_f64 v[176:177], v[66:67], -v[190:191]
	v_fma_f64 v[26:27], v[178:179], v[20:21], v[0:1]
	v_add_f64 v[178:179], v[64:65], v[188:189]
	s_waitcnt vmcnt(1)
	v_mul_f64 v[0:1], v[198:199], v[18:19]
	v_fma_f64 v[28:29], v[196:197], v[16:17], -v[0:1]
	v_mul_f64 v[0:1], v[196:197], v[18:19]
	buffer_store_dword v16, off, s[40:43], 0 offset:744 ; 4-byte Folded Spill
	buffer_store_dword v17, off, s[40:43], 0 offset:748 ; 4-byte Folded Spill
	;; [unrolled: 1-line block ×4, first 2 shown]
	v_add_f64 v[196:197], v[70:71], -v[74:75]
	v_fma_f64 v[30:31], v[198:199], v[16:17], v[0:1]
	s_waitcnt vmcnt(0)
	v_mul_f64 v[0:1], v[202:203], v[94:95]
	v_add_f64 v[198:199], v[72:73], v[76:77]
	v_fma_f64 v[20:21], v[200:201], v[92:93], -v[0:1]
	v_mul_f64 v[0:1], v[200:201], v[94:95]
	buffer_store_dword v92, off, s[40:43], 0 offset:808 ; 4-byte Folded Spill
	buffer_store_dword v93, off, s[40:43], 0 offset:812 ; 4-byte Folded Spill
	;; [unrolled: 1-line block ×4, first 2 shown]
	s_clause 0x1
	global_load_dwordx4 v[16:19], v[8:9], off offset:1440
	global_load_dwordx4 v[8:11], v[8:9], off offset:1456
	v_add_f64 v[94:95], v[12:13], v[54:55]
	v_fma_f64 v[22:23], v[202:203], v[92:93], v[0:1]
	s_waitcnt vmcnt(1)
	v_mul_f64 v[0:1], v[254:255], v[18:19]
	v_fma_f64 v[202:203], v[252:253], v[16:17], -v[0:1]
	v_mul_f64 v[0:1], v[252:253], v[18:19]
	buffer_store_dword v16, off, s[40:43], 0 offset:824 ; 4-byte Folded Spill
	buffer_store_dword v17, off, s[40:43], 0 offset:828 ; 4-byte Folded Spill
	;; [unrolled: 1-line block ×4, first 2 shown]
	v_add_f64 v[252:253], v[4:5], v[12:13]
	v_fma_f64 v[18:19], v[254:255], v[16:17], v[0:1]
	s_waitcnt vmcnt(0)
	v_mul_f64 v[0:1], v[246:247], v[10:11]
	v_add_f64 v[254:255], v[6:7], v[14:15]
	v_fma_f64 v[16:17], v[244:245], v[8:9], -v[0:1]
	v_mul_f64 v[0:1], v[244:245], v[10:11]
	buffer_store_dword v8, off, s[40:43], 0 offset:840 ; 4-byte Folded Spill
	buffer_store_dword v9, off, s[40:43], 0 offset:844 ; 4-byte Folded Spill
	;; [unrolled: 1-line block ×4, first 2 shown]
	v_fma_f64 v[200:201], v[246:247], v[8:9], v[0:1]
	v_add_f64 v[0:1], v[14:15], -v[52:53]
	v_mul_f64 v[2:3], v[0:1], s[24:25]
	v_mul_f64 v[8:9], v[0:1], s[16:17]
	;; [unrolled: 1-line block ×5, first 2 shown]
	v_fma_f64 v[96:97], v[94:95], s[12:13], -v[2:3]
	v_fma_f64 v[2:3], v[94:95], s[12:13], v[2:3]
	v_fma_f64 v[98:99], v[94:95], s[4:5], -v[8:9]
	v_fma_f64 v[8:9], v[94:95], s[4:5], v[8:9]
	;; [unrolled: 2-line block ×5, first 2 shown]
	v_add_f64 v[94:95], v[12:13], -v[54:55]
	v_add_f64 v[12:13], v[4:5], v[96:97]
	v_add_f64 v[2:3], v[4:5], v[2:3]
	;; [unrolled: 1-line block ×8, first 2 shown]
	v_mul_f64 v[106:107], v[94:95], s[24:25]
	v_mul_f64 v[108:109], v[94:95], s[16:17]
	;; [unrolled: 1-line block ×6, first 2 shown]
	v_fma_f64 v[116:117], v[114:115], s[12:13], v[106:107]
	v_fma_f64 v[106:107], v[114:115], s[12:13], -v[106:107]
	v_fma_f64 v[118:119], v[114:115], s[4:5], v[108:109]
	v_fma_f64 v[108:109], v[114:115], s[4:5], -v[108:109]
	;; [unrolled: 2-line block ×5, first 2 shown]
	v_add_f64 v[114:115], v[4:5], v[8:9]
	v_mul_f64 v[8:9], v[164:165], s[16:17]
	v_add_f64 v[14:15], v[6:7], v[116:117]
	v_add_f64 v[96:97], v[6:7], v[106:107]
	;; [unrolled: 1-line block ×4, first 2 shown]
	v_fma_f64 v[4:5], v[146:147], s[4:5], -v[0:1]
	v_mul_f64 v[10:11], v[168:169], s[20:21]
	v_add_f64 v[108:109], v[6:7], v[108:109]
	v_add_f64 v[116:117], v[6:7], v[124:125]
	;; [unrolled: 1-line block ×7, first 2 shown]
	v_fma_f64 v[6:7], v[166:167], s[4:5], v[8:9]
	v_fma_f64 v[0:1], v[146:147], s[4:5], v[0:1]
	v_add_f64 v[4:5], v[4:5], v[12:13]
	v_fma_f64 v[12:13], v[170:171], s[22:23], -v[10:11]
	v_add_f64 v[6:7], v[6:7], v[14:15]
	v_add_f64 v[0:1], v[0:1], v[2:3]
	v_fma_f64 v[2:3], v[166:167], s[4:5], -v[8:9]
	v_fma_f64 v[8:9], v[170:171], s[22:23], v[10:11]
	v_add_f64 v[4:5], v[12:13], v[4:5]
	v_mul_f64 v[12:13], v[172:173], s[20:21]
	v_add_f64 v[2:3], v[2:3], v[96:97]
	v_add_f64 v[0:1], v[8:9], v[0:1]
	v_mul_f64 v[96:97], v[168:169], s[34:35]
	v_fma_f64 v[14:15], v[174:175], s[22:23], v[12:13]
	v_fma_f64 v[8:9], v[174:175], s[22:23], -v[12:13]
	v_mul_f64 v[12:13], v[142:143], s[14:15]
	v_add_f64 v[6:7], v[14:15], v[6:7]
	v_mul_f64 v[14:15], v[176:177], s[14:15]
	v_add_f64 v[2:3], v[8:9], v[2:3]
	v_fma_f64 v[124:125], v[178:179], s[2:3], -v[14:15]
	v_fma_f64 v[8:9], v[178:179], s[2:3], v[14:15]
	v_mul_f64 v[14:15], v[164:165], s[14:15]
	v_add_f64 v[4:5], v[124:125], v[4:5]
	v_mul_f64 v[124:125], v[180:181], s[14:15]
	v_add_f64 v[0:1], v[8:9], v[0:1]
	v_fma_f64 v[126:127], v[182:183], s[2:3], v[124:125]
	v_fma_f64 v[8:9], v[182:183], s[2:3], -v[124:125]
	v_add_f64 v[6:7], v[126:127], v[6:7]
	v_mul_f64 v[126:127], v[192:193], s[26:27]
	v_add_f64 v[2:3], v[8:9], v[2:3]
	v_fma_f64 v[128:129], v[194:195], s[18:19], -v[126:127]
	v_fma_f64 v[8:9], v[194:195], s[18:19], v[126:127]
	v_add_f64 v[4:5], v[128:129], v[4:5]
	v_mul_f64 v[128:129], v[196:197], s[26:27]
	v_add_f64 v[0:1], v[8:9], v[0:1]
	v_fma_f64 v[8:9], v[146:147], s[2:3], -v[12:13]
	v_fma_f64 v[12:13], v[146:147], s[2:3], v[12:13]
	v_fma_f64 v[10:11], v[198:199], s[18:19], -v[128:129]
	v_fma_f64 v[130:131], v[198:199], s[18:19], v[128:129]
	v_add_f64 v[8:9], v[8:9], v[98:99]
	v_fma_f64 v[98:99], v[170:171], s[18:19], -v[96:97]
	v_add_f64 v[12:13], v[12:13], v[114:115]
	v_fma_f64 v[96:97], v[170:171], s[18:19], v[96:97]
	v_add_f64 v[2:3], v[10:11], v[2:3]
	v_fma_f64 v[10:11], v[166:167], s[2:3], v[14:15]
	v_fma_f64 v[14:15], v[166:167], s[2:3], -v[14:15]
	v_add_f64 v[8:9], v[98:99], v[8:9]
	v_mul_f64 v[98:99], v[172:173], s[34:35]
	v_add_f64 v[12:13], v[96:97], v[12:13]
	v_add_f64 v[6:7], v[130:131], v[6:7]
	;; [unrolled: 1-line block ×4, first 2 shown]
	v_fma_f64 v[106:107], v[174:175], s[18:19], v[98:99]
	v_fma_f64 v[96:97], v[174:175], s[18:19], -v[98:99]
	v_add_f64 v[10:11], v[106:107], v[10:11]
	v_mul_f64 v[106:107], v[176:177], s[28:29]
	v_add_f64 v[14:15], v[96:97], v[14:15]
	v_fma_f64 v[124:125], v[178:179], s[22:23], -v[106:107]
	v_fma_f64 v[96:97], v[178:179], s[22:23], v[106:107]
	v_add_f64 v[8:9], v[124:125], v[8:9]
	v_mul_f64 v[124:125], v[180:181], s[28:29]
	v_add_f64 v[12:13], v[96:97], v[12:13]
	v_fma_f64 v[126:127], v[182:183], s[22:23], v[124:125]
	v_fma_f64 v[96:97], v[182:183], s[22:23], -v[124:125]
	v_add_f64 v[10:11], v[126:127], v[10:11]
	v_mul_f64 v[126:127], v[192:193], s[30:31]
	v_add_f64 v[14:15], v[96:97], v[14:15]
	v_fma_f64 v[96:97], v[194:195], s[12:13], v[126:127]
	v_fma_f64 v[128:129], v[194:195], s[12:13], -v[126:127]
	v_add_f64 v[124:125], v[96:97], v[12:13]
	v_mul_f64 v[96:97], v[142:143], s[34:35]
	v_add_f64 v[8:9], v[128:129], v[8:9]
	v_mul_f64 v[128:129], v[196:197], s[30:31]
	v_fma_f64 v[12:13], v[146:147], s[18:19], -v[96:97]
	v_fma_f64 v[96:97], v[146:147], s[18:19], v[96:97]
	v_fma_f64 v[98:99], v[198:199], s[12:13], -v[128:129]
	v_fma_f64 v[130:131], v[198:199], s[12:13], v[128:129]
	v_add_f64 v[12:13], v[12:13], v[100:101]
	v_mul_f64 v[100:101], v[168:169], s[36:37]
	v_add_f64 v[126:127], v[98:99], v[14:15]
	v_mul_f64 v[98:99], v[164:165], s[34:35]
	v_add_f64 v[96:97], v[96:97], v[118:119]
	v_add_f64 v[10:11], v[130:131], v[10:11]
	v_fma_f64 v[106:107], v[170:171], s[4:5], -v[100:101]
	v_fma_f64 v[100:101], v[170:171], s[4:5], v[100:101]
	v_fma_f64 v[14:15], v[166:167], s[18:19], v[98:99]
	v_fma_f64 v[98:99], v[166:167], s[18:19], -v[98:99]
	v_add_f64 v[12:13], v[106:107], v[12:13]
	v_mul_f64 v[106:107], v[172:173], s[36:37]
	v_add_f64 v[14:15], v[14:15], v[116:117]
	v_add_f64 v[98:99], v[98:99], v[110:111]
	;; [unrolled: 1-line block ×3, first 2 shown]
	v_fma_f64 v[108:109], v[174:175], s[4:5], v[106:107]
	v_fma_f64 v[100:101], v[174:175], s[4:5], -v[106:107]
	v_add_f64 v[14:15], v[108:109], v[14:15]
	v_mul_f64 v[108:109], v[176:177], s[24:25]
	v_add_f64 v[98:99], v[100:101], v[98:99]
	v_fma_f64 v[114:115], v[178:179], s[12:13], -v[108:109]
	v_fma_f64 v[100:101], v[178:179], s[12:13], v[108:109]
	v_add_f64 v[12:13], v[114:115], v[12:13]
	v_mul_f64 v[114:115], v[180:181], s[24:25]
	v_add_f64 v[96:97], v[100:101], v[96:97]
	v_fma_f64 v[116:117], v[182:183], s[12:13], v[114:115]
	v_fma_f64 v[100:101], v[182:183], s[12:13], -v[114:115]
	v_add_f64 v[14:15], v[116:117], v[14:15]
	v_mul_f64 v[116:117], v[192:193], s[14:15]
	v_add_f64 v[98:99], v[100:101], v[98:99]
	v_fma_f64 v[128:129], v[194:195], s[2:3], -v[116:117]
	v_fma_f64 v[100:101], v[194:195], s[2:3], v[116:117]
	v_add_f64 v[12:13], v[128:129], v[12:13]
	v_mul_f64 v[128:129], v[196:197], s[14:15]
	v_fma_f64 v[130:131], v[198:199], s[2:3], v[128:129]
	v_fma_f64 v[106:107], v[198:199], s[2:3], -v[128:129]
	v_add_f64 v[128:129], v[100:101], v[96:97]
	v_mul_f64 v[96:97], v[142:143], s[28:29]
	v_mul_f64 v[100:101], v[164:165], s[28:29]
	v_add_f64 v[14:15], v[130:131], v[14:15]
	v_add_f64 v[130:131], v[106:107], v[98:99]
	v_mul_f64 v[106:107], v[168:169], s[24:25]
	v_fma_f64 v[98:99], v[146:147], s[22:23], -v[96:97]
	v_fma_f64 v[96:97], v[146:147], s[22:23], v[96:97]
	v_fma_f64 v[108:109], v[170:171], s[12:13], -v[106:107]
	v_add_f64 v[98:99], v[98:99], v[102:103]
	v_fma_f64 v[102:103], v[166:167], s[22:23], v[100:101]
	v_add_f64 v[92:93], v[96:97], v[92:93]
	v_fma_f64 v[96:97], v[166:167], s[22:23], -v[100:101]
	v_fma_f64 v[100:101], v[170:171], s[12:13], v[106:107]
	v_add_f64 v[98:99], v[108:109], v[98:99]
	v_mul_f64 v[108:109], v[172:173], s[24:25]
	v_add_f64 v[102:103], v[102:103], v[132:133]
	v_add_f64 v[96:97], v[96:97], v[112:113]
	;; [unrolled: 1-line block ×3, first 2 shown]
	v_mul_f64 v[112:113], v[196:197], s[20:21]
	v_fma_f64 v[110:111], v[174:175], s[12:13], v[108:109]
	v_fma_f64 v[100:101], v[174:175], s[12:13], -v[108:109]
	v_add_f64 v[102:103], v[110:111], v[102:103]
	v_mul_f64 v[110:111], v[176:177], s[26:27]
	v_add_f64 v[96:97], v[100:101], v[96:97]
	v_fma_f64 v[114:115], v[178:179], s[18:19], -v[110:111]
	v_fma_f64 v[100:101], v[178:179], s[18:19], v[110:111]
	v_add_f64 v[98:99], v[114:115], v[98:99]
	v_mul_f64 v[114:115], v[180:181], s[26:27]
	v_add_f64 v[92:93], v[100:101], v[92:93]
	v_fma_f64 v[116:117], v[182:183], s[18:19], v[114:115]
	v_fma_f64 v[100:101], v[182:183], s[18:19], -v[114:115]
	v_add_f64 v[102:103], v[116:117], v[102:103]
	v_mul_f64 v[116:117], v[192:193], s[36:37]
	v_add_f64 v[96:97], v[100:101], v[96:97]
	v_fma_f64 v[118:119], v[194:195], s[4:5], -v[116:117]
	v_fma_f64 v[100:101], v[194:195], s[4:5], v[116:117]
	v_add_f64 v[132:133], v[118:119], v[98:99]
	v_mul_f64 v[98:99], v[196:197], s[36:37]
	v_add_f64 v[136:137], v[100:101], v[92:93]
	v_mul_f64 v[92:93], v[142:143], s[30:31]
	v_add_f64 v[196:197], v[44:45], -v[20:21]
	v_fma_f64 v[118:119], v[198:199], s[4:5], v[98:99]
	v_fma_f64 v[98:99], v[198:199], s[4:5], -v[98:99]
	v_add_f64 v[134:135], v[118:119], v[102:103]
	v_add_f64 v[138:139], v[98:99], v[96:97]
	v_fma_f64 v[96:97], v[146:147], s[12:13], -v[92:93]
	v_mul_f64 v[102:103], v[168:169], s[14:15]
	v_mul_f64 v[98:99], v[164:165], s[30:31]
	v_fma_f64 v[92:93], v[146:147], s[12:13], v[92:93]
	v_add_f64 v[96:97], v[96:97], v[104:105]
	v_fma_f64 v[104:105], v[170:171], s[2:3], -v[102:103]
	v_fma_f64 v[100:101], v[166:167], s[12:13], v[98:99]
	v_add_f64 v[92:93], v[92:93], v[144:145]
	v_add_f64 v[96:97], v[104:105], v[96:97]
	v_mul_f64 v[104:105], v[172:173], s[14:15]
	v_add_f64 v[100:101], v[100:101], v[140:141]
	v_add_f64 v[172:173], v[36:37], v[28:29]
	v_fma_f64 v[106:107], v[174:175], s[2:3], v[104:105]
	v_add_f64 v[100:101], v[106:107], v[100:101]
	v_mul_f64 v[106:107], v[176:177], s[36:37]
	v_add_f64 v[176:177], v[36:37], -v[28:29]
	v_fma_f64 v[108:109], v[178:179], s[4:5], -v[106:107]
	v_add_f64 v[96:97], v[108:109], v[96:97]
	v_mul_f64 v[108:109], v[180:181], s[36:37]
	v_add_f64 v[180:181], v[38:39], -v[30:31]
	v_fma_f64 v[110:111], v[182:183], s[4:5], v[108:109]
	v_add_f64 v[100:101], v[110:111], v[100:101]
	v_mul_f64 v[110:111], v[192:193], s[20:21]
	v_mul_f64 v[192:193], v[176:177], s[14:15]
	v_fma_f64 v[114:115], v[194:195], s[22:23], -v[110:111]
	v_add_f64 v[140:141], v[114:115], v[96:97]
	v_fma_f64 v[96:97], v[198:199], s[22:23], v[112:113]
	v_add_f64 v[142:143], v[96:97], v[100:101]
	v_fma_f64 v[96:97], v[166:167], s[12:13], -v[98:99]
	v_fma_f64 v[98:99], v[170:171], s[2:3], v[102:103]
	v_fma_f64 v[100:101], v[174:175], s[2:3], -v[104:105]
	v_fma_f64 v[102:103], v[182:183], s[4:5], -v[108:109]
	v_add_f64 v[108:109], v[48:49], v[16:17]
	buffer_store_dword v16, off, s[40:43], 0 offset:856 ; 4-byte Folded Spill
	buffer_store_dword v17, off, s[40:43], 0 offset:860 ; 4-byte Folded Spill
	v_add_f64 v[104:105], v[42:43], v[18:19]
	v_add_f64 v[182:183], v[44:45], v[20:21]
	v_mul_f64 v[170:171], v[180:181], s[14:15]
	v_add_f64 v[94:95], v[96:97], v[94:95]
	v_fma_f64 v[96:97], v[178:179], s[4:5], v[106:107]
	v_add_f64 v[92:93], v[98:99], v[92:93]
	v_fma_f64 v[98:99], v[194:195], s[22:23], v[110:111]
	v_add_f64 v[110:111], v[50:51], -v[200:201]
	buffer_store_dword v200, off, s[40:43], 0 offset:864 ; 4-byte Folded Spill
	buffer_store_dword v201, off, s[40:43], 0 offset:868 ; 4-byte Folded Spill
	v_add_f64 v[194:195], v[34:35], v[26:27]
	v_add_f64 v[94:95], v[100:101], v[94:95]
	v_fma_f64 v[100:101], v[198:199], s[22:23], -v[112:113]
	v_add_f64 v[92:93], v[96:97], v[92:93]
	v_add_f64 v[96:97], v[42:43], -v[18:19]
	v_mul_f64 v[114:115], v[110:111], s[24:25]
	v_add_f64 v[198:199], v[38:39], v[30:31]
	v_add_f64 v[94:95], v[102:103], v[94:95]
	v_add_f64 v[144:145], v[98:99], v[92:93]
	v_fma_f64 v[92:93], v[108:109], s[12:13], v[114:115]
	v_add_f64 v[146:147], v[100:101], v[94:95]
	v_mul_f64 v[100:101], v[96:97], s[16:17]
	v_add_f64 v[94:95], v[248:249], v[92:93]
	v_add_f64 v[92:93], v[40:41], v[202:203]
	buffer_store_dword v202, off, s[40:43], 0 offset:872 ; 4-byte Folded Spill
	buffer_store_dword v203, off, s[40:43], 0 offset:876 ; 4-byte Folded Spill
	v_fma_f64 v[98:99], v[92:93], s[4:5], v[100:101]
	v_add_f64 v[98:99], v[98:99], v[94:95]
	v_add_f64 v[112:113], v[48:49], -v[16:17]
	v_add_f64 v[116:117], v[50:51], v[200:201]
	v_mul_f64 v[118:119], v[112:113], s[24:25]
	v_add_f64 v[200:201], v[46:47], -v[22:23]
	v_fma_f64 v[94:95], v[116:117], s[12:13], -v[118:119]
	v_add_f64 v[94:95], v[250:251], v[94:95]
	v_add_f64 v[102:103], v[40:41], -v[202:203]
	v_add_f64 v[202:203], v[46:47], v[22:23]
	v_mul_f64 v[106:107], v[102:103], s[16:17]
	v_fma_f64 v[164:165], v[104:105], s[4:5], -v[106:107]
	v_add_f64 v[164:165], v[164:165], v[94:95]
	v_mul_f64 v[94:95], v[200:201], s[20:21]
	v_fma_f64 v[166:167], v[182:183], s[22:23], v[94:95]
	v_add_f64 v[166:167], v[166:167], v[98:99]
	v_mul_f64 v[98:99], v[196:197], s[20:21]
	v_fma_f64 v[168:169], v[202:203], s[22:23], -v[98:99]
	v_add_f64 v[164:165], v[168:169], v[164:165]
	v_fma_f64 v[168:169], v[172:173], s[2:3], v[170:171]
	v_add_f64 v[174:175], v[168:169], v[166:167]
	v_fma_f64 v[166:167], v[198:199], s[2:3], -v[192:193]
	v_add_f64 v[168:169], v[34:35], -v[26:27]
	v_add_f64 v[246:247], v[166:167], v[164:165]
	v_add_f64 v[164:165], v[32:33], v[24:25]
	v_mul_f64 v[166:167], v[168:169], s[26:27]
	v_fma_f64 v[178:179], v[164:165], s[18:19], v[166:167]
	v_add_f64 v[244:245], v[178:179], v[174:175]
	v_add_f64 v[174:175], v[32:33], -v[24:25]
	v_mul_f64 v[178:179], v[174:175], s[26:27]
	v_fma_f64 v[16:17], v[194:195], s[18:19], -v[178:179]
	v_add_f64 v[246:247], v[16:17], v[246:247]
	v_add_f64 v[16:17], v[252:253], v[56:57]
	;; [unrolled: 1-line block ×3, first 2 shown]
	v_mul_f64 v[58:59], v[176:177], s[28:29]
	v_add_f64 v[16:17], v[16:17], v[60:61]
	v_add_f64 v[56:57], v[56:57], v[62:63]
	v_mul_f64 v[60:61], v[200:201], s[34:35]
	v_mul_f64 v[62:63], v[196:197], s[34:35]
	v_add_f64 v[16:17], v[16:17], v[64:65]
	v_add_f64 v[56:57], v[56:57], v[66:67]
	v_mul_f64 v[64:65], v[96:97], s[14:15]
	;; [unrolled: 4-line block ×3, first 2 shown]
	v_add_f64 v[16:17], v[16:17], v[74:75]
	v_add_f64 v[56:57], v[56:57], v[76:77]
	;; [unrolled: 1-line block ×8, first 2 shown]
	v_mul_f64 v[68:69], v[110:111], s[16:17]
	v_add_f64 v[72:73], v[16:17], v[54:55]
	v_add_f64 v[74:75], v[56:57], v[52:53]
	v_fma_f64 v[16:17], v[108:109], s[4:5], v[68:69]
	v_fma_f64 v[52:53], v[92:93], s[2:3], v[64:65]
	v_fma_f64 v[54:55], v[104:105], s[2:3], -v[66:67]
	v_mul_f64 v[56:57], v[180:181], s[28:29]
	ds_write_b128 v156, v[4:7] offset:1344
	ds_write_b128 v156, v[8:11] offset:2688
	;; [unrolled: 1-line block ×9, first 2 shown]
	ds_write_b128 v156, v[72:75]
	ds_write_b128 v156, v[0:3] offset:13440
	v_add_f64 v[16:17], v[248:249], v[16:17]
	v_add_f64 v[16:17], v[52:53], v[16:17]
	v_fma_f64 v[52:53], v[116:117], s[4:5], -v[70:71]
	v_add_f64 v[52:53], v[250:251], v[52:53]
	v_add_f64 v[52:53], v[54:55], v[52:53]
	v_fma_f64 v[54:55], v[182:183], s[18:19], v[60:61]
	v_add_f64 v[16:17], v[54:55], v[16:17]
	v_fma_f64 v[54:55], v[202:203], s[18:19], -v[62:63]
	v_add_f64 v[52:53], v[54:55], v[52:53]
	v_fma_f64 v[54:55], v[172:173], s[22:23], v[56:57]
	v_add_f64 v[16:17], v[54:55], v[16:17]
	v_fma_f64 v[54:55], v[198:199], s[22:23], -v[58:59]
	v_add_f64 v[76:77], v[54:55], v[52:53]
	v_mul_f64 v[52:53], v[168:169], s[30:31]
	v_fma_f64 v[54:55], v[164:165], s[12:13], v[52:53]
	v_add_f64 v[252:253], v[54:55], v[16:17]
	v_mul_f64 v[54:55], v[174:175], s[30:31]
	v_fma_f64 v[16:17], v[194:195], s[12:13], -v[54:55]
	v_add_f64 v[254:255], v[16:17], v[76:77]
	s_and_saveexec_b32 s1, s0
	s_cbranch_execz .LBB0_15
; %bb.14:
	v_add_f64 v[48:49], v[248:249], v[48:49]
	v_mul_f64 v[8:9], v[116:117], s[18:19]
	v_add_f64 v[50:51], v[250:251], v[50:51]
	v_mul_f64 v[10:11], v[116:117], s[2:3]
	s_mov_b32 s39, 0x3fe82f19
	s_mov_b32 s38, s14
	v_mul_f64 v[0:1], v[116:117], s[4:5]
	v_mul_f64 v[72:73], v[110:111], s[14:15]
	;; [unrolled: 1-line block ×7, first 2 shown]
	v_add_f64 v[40:41], v[48:49], v[40:41]
	v_fma_f64 v[14:15], v[112:113], s[34:35], v[8:9]
	v_add_f64 v[42:43], v[50:51], v[42:43]
	v_fma_f64 v[8:9], v[112:113], s[26:27], v[8:9]
	v_fma_f64 v[16:17], v[112:113], s[38:39], v[10:11]
	;; [unrolled: 1-line block ×3, first 2 shown]
	v_add_f64 v[0:1], v[70:71], v[0:1]
	v_mul_f64 v[70:71], v[110:111], s[26:27]
	v_fma_f64 v[78:79], v[108:109], s[2:3], v[72:73]
	v_add_f64 v[6:7], v[6:7], -v[68:69]
	v_fma_f64 v[68:69], v[112:113], s[20:21], v[12:13]
	v_add_f64 v[4:5], v[4:5], -v[114:115]
	v_fma_f64 v[110:111], v[108:109], s[22:23], -v[74:75]
	v_fma_f64 v[72:73], v[108:109], s[2:3], -v[72:73]
	v_fma_f64 v[74:75], v[108:109], s[22:23], v[74:75]
	v_add_f64 v[2:3], v[118:119], v[2:3]
	v_fma_f64 v[12:13], v[112:113], s[28:29], v[12:13]
	v_add_f64 v[40:41], v[40:41], v[44:45]
	v_mul_f64 v[44:45], v[104:105], s[12:13]
	v_add_f64 v[14:15], v[250:251], v[14:15]
	v_add_f64 v[42:43], v[42:43], v[46:47]
	;; [unrolled: 1-line block ×5, first 2 shown]
	v_fma_f64 v[76:77], v[108:109], s[18:19], v[70:71]
	v_fma_f64 v[70:71], v[108:109], s[18:19], -v[70:71]
	v_add_f64 v[78:79], v[248:249], v[78:79]
	v_add_f64 v[68:69], v[250:251], v[68:69]
	;; [unrolled: 1-line block ×11, first 2 shown]
	v_fma_f64 v[46:47], v[102:103], s[24:25], v[44:45]
	v_fma_f64 v[44:45], v[102:103], s[30:31], v[44:45]
	v_add_f64 v[38:39], v[42:43], v[38:39]
	v_add_f64 v[76:77], v[248:249], v[76:77]
	;; [unrolled: 1-line block ×5, first 2 shown]
	v_mul_f64 v[46:47], v[96:97], s[30:31]
	v_add_f64 v[8:9], v[44:45], v[8:9]
	v_add_f64 v[34:35], v[38:39], v[34:35]
	v_mul_f64 v[38:39], v[92:93], s[2:3]
	v_add_f64 v[24:25], v[32:33], v[24:25]
	v_mul_f64 v[32:33], v[104:105], s[18:19]
	v_fma_f64 v[48:49], v[92:93], s[12:13], v[46:47]
	v_fma_f64 v[44:45], v[92:93], s[12:13], -v[46:47]
	v_mul_f64 v[46:47], v[104:105], s[22:23]
	v_add_f64 v[26:27], v[34:35], v[26:27]
	v_add_f64 v[38:39], v[38:39], -v[64:65]
	v_add_f64 v[24:25], v[24:25], v[28:29]
	v_fma_f64 v[34:35], v[102:103], s[34:35], v[32:33]
	v_add_f64 v[48:49], v[48:49], v[76:77]
	v_add_f64 v[44:45], v[44:45], v[70:71]
	v_fma_f64 v[40:41], v[102:103], s[28:29], v[46:47]
	v_fma_f64 v[50:51], v[102:103], s[20:21], v[46:47]
	v_mul_f64 v[76:77], v[96:97], s[34:35]
	v_mul_f64 v[28:29], v[202:203], s[4:5]
	v_add_f64 v[6:7], v[38:39], v[6:7]
	v_add_f64 v[26:27], v[26:27], v[30:31]
	v_fma_f64 v[32:33], v[102:103], s[26:27], v[32:33]
	v_mul_f64 v[30:31], v[200:201], s[36:37]
	v_add_f64 v[20:21], v[24:25], v[20:21]
	v_add_f64 v[34:35], v[34:35], v[68:69]
	v_mul_f64 v[68:69], v[202:203], s[18:19]
	v_mul_f64 v[24:25], v[194:195], s[2:3]
	v_add_f64 v[10:11], v[40:41], v[10:11]
	v_mul_f64 v[40:41], v[202:203], s[2:3]
	v_add_f64 v[16:17], v[50:51], v[16:17]
	v_mul_f64 v[50:51], v[96:97], s[28:29]
	v_fma_f64 v[38:39], v[196:197], s[36:37], v[28:29]
	v_add_f64 v[22:23], v[26:27], v[22:23]
	v_mul_f64 v[26:27], v[164:165], s[12:13]
	v_add_f64 v[12:13], v[32:33], v[12:13]
	v_fma_f64 v[32:33], v[182:183], s[4:5], -v[30:31]
	v_fma_f64 v[28:29], v[196:197], s[16:17], v[28:29]
	v_fma_f64 v[30:31], v[182:183], s[4:5], v[30:31]
	v_mul_f64 v[96:97], v[168:169], s[36:37]
	v_add_f64 v[62:63], v[62:63], v[68:69]
	v_mul_f64 v[68:69], v[198:199], s[22:23]
	v_fma_f64 v[42:43], v[196:197], s[38:39], v[40:41]
	v_fma_f64 v[40:41], v[196:197], s[14:15], v[40:41]
	;; [unrolled: 1-line block ×3, first 2 shown]
	v_add_f64 v[34:35], v[38:39], v[34:35]
	v_fma_f64 v[50:51], v[92:93], s[22:23], -v[50:51]
	v_add_f64 v[52:53], v[26:27], -v[52:53]
	v_add_f64 v[12:13], v[28:29], v[12:13]
	v_fma_f64 v[28:29], v[164:165], s[4:5], v[96:97]
	v_add_f64 v[38:39], v[58:59], v[68:69]
	v_mul_f64 v[58:59], v[194:195], s[22:23]
	v_add_f64 v[14:15], v[42:43], v[14:15]
	v_mul_f64 v[42:43], v[200:201], s[14:15]
	v_add_f64 v[8:9], v[40:41], v[8:9]
	v_add_f64 v[70:71], v[70:71], v[78:79]
	v_fma_f64 v[78:79], v[92:93], s[18:19], -v[76:77]
	v_add_f64 v[50:51], v[50:51], v[72:73]
	v_mul_f64 v[72:73], v[198:199], s[2:3]
	v_fma_f64 v[76:77], v[92:93], s[18:19], v[76:77]
	v_mul_f64 v[68:69], v[164:165], s[18:19]
	v_fma_f64 v[46:47], v[182:183], s[2:3], v[42:43]
	v_fma_f64 v[40:41], v[182:183], s[2:3], -v[42:43]
	v_mul_f64 v[42:43], v[202:203], s[12:13]
	v_add_f64 v[72:73], v[192:193], v[72:73]
	v_add_f64 v[74:75], v[76:77], v[74:75]
	v_mul_f64 v[76:77], v[194:195], s[4:5]
	v_add_f64 v[68:69], v[68:69], -v[166:167]
	v_add_f64 v[46:47], v[46:47], v[48:49]
	v_add_f64 v[40:41], v[40:41], v[44:45]
	v_fma_f64 v[44:45], v[196:197], s[30:31], v[42:43]
	v_fma_f64 v[36:37], v[196:197], s[24:25], v[42:43]
	v_mul_f64 v[42:43], v[198:199], s[4:5]
	v_add_f64 v[30:31], v[30:31], v[74:75]
	v_fma_f64 v[74:75], v[174:175], s[36:37], v[76:77]
	v_add_f64 v[16:17], v[44:45], v[16:17]
	v_mul_f64 v[44:45], v[200:201], s[24:25]
	v_add_f64 v[10:11], v[36:37], v[10:11]
	v_mul_f64 v[36:37], v[104:105], s[2:3]
	v_fma_f64 v[64:65], v[176:177], s[16:17], v[42:43]
	v_fma_f64 v[42:43], v[176:177], s[36:37], v[42:43]
	v_fma_f64 v[48:49], v[182:183], s[12:13], v[44:45]
	v_fma_f64 v[44:45], v[182:183], s[12:13], -v[44:45]
	v_add_f64 v[36:37], v[66:67], v[36:37]
	v_add_f64 v[14:15], v[64:65], v[14:15]
	;; [unrolled: 1-line block ×3, first 2 shown]
	v_mul_f64 v[64:65], v[180:181], s[36:37]
	v_add_f64 v[48:49], v[48:49], v[70:71]
	v_mul_f64 v[70:71], v[92:93], s[4:5]
	v_add_f64 v[0:1], v[36:37], v[0:1]
	v_mul_f64 v[36:37], v[182:183], s[18:19]
	v_mul_f64 v[92:93], v[172:173], s[2:3]
	v_fma_f64 v[42:43], v[172:173], s[4:5], -v[64:65]
	v_fma_f64 v[66:67], v[172:173], s[4:5], v[64:65]
	v_add_f64 v[44:45], v[44:45], v[50:51]
	v_fma_f64 v[50:51], v[174:175], s[16:17], v[76:77]
	v_fma_f64 v[76:77], v[174:175], s[14:15], v[24:25]
	v_add_f64 v[70:71], v[70:71], -v[100:101]
	v_add_f64 v[0:1], v[62:63], v[0:1]
	v_add_f64 v[36:37], v[36:37], -v[60:61]
	v_mul_f64 v[60:61], v[202:203], s[22:23]
	v_add_f64 v[40:41], v[42:43], v[40:41]
	v_mul_f64 v[42:43], v[198:199], s[18:19]
	v_add_f64 v[46:47], v[66:67], v[46:47]
	v_add_f64 v[92:93], v[92:93], -v[170:171]
	v_mul_f64 v[100:101], v[194:195], s[12:13]
	v_mul_f64 v[62:63], v[168:169], s[20:21]
	v_add_f64 v[4:5], v[70:71], v[4:5]
	v_add_f64 v[70:71], v[78:79], v[108:109]
	v_mul_f64 v[78:79], v[172:173], s[22:23]
	v_add_f64 v[6:7], v[36:37], v[6:7]
	v_fma_f64 v[36:37], v[174:175], s[28:29], v[58:59]
	v_fma_f64 v[58:59], v[174:175], s[20:21], v[58:59]
	v_add_f64 v[38:39], v[38:39], v[0:1]
	s_clause 0x1
	buffer_load_dword v0, off, s[40:43], 0 offset:872
	buffer_load_dword v1, off, s[40:43], 0 offset:876
	v_fma_f64 v[64:65], v[176:177], s[34:35], v[42:43]
	v_add_f64 v[60:61], v[98:99], v[60:61]
	v_mul_f64 v[98:99], v[168:169], s[14:15]
	v_fma_f64 v[42:43], v[176:177], s[26:27], v[42:43]
	v_add_f64 v[54:55], v[54:55], v[100:101]
	v_add_f64 v[32:33], v[32:33], v[70:71]
	v_add_f64 v[56:57], v[78:79], -v[56:57]
	v_mul_f64 v[78:79], v[180:181], s[24:25]
	v_fma_f64 v[70:71], v[164:165], s[22:23], v[62:63]
	v_fma_f64 v[62:63], v[164:165], s[22:23], -v[62:63]
	v_add_f64 v[64:65], v[64:65], v[16:17]
	v_mul_f64 v[16:17], v[180:181], s[26:27]
	v_add_f64 v[10:11], v[42:43], v[10:11]
	v_fma_f64 v[42:43], v[164:165], s[4:5], -v[96:97]
	v_fma_f64 v[96:97], v[174:175], s[38:39], v[24:25]
	v_add_f64 v[56:57], v[56:57], v[6:7]
	v_add_f64 v[6:7], v[58:59], v[8:9]
	s_clause 0x1
	buffer_load_dword v8, off, s[40:43], 0 offset:864
	buffer_load_dword v9, off, s[40:43], 0 offset:868
	v_fma_f64 v[102:103], v[172:173], s[12:13], -v[78:79]
	v_fma_f64 v[78:79], v[172:173], s[12:13], v[78:79]
	v_fma_f64 v[66:67], v[172:173], s[18:19], v[16:17]
	v_fma_f64 v[16:17], v[172:173], s[18:19], -v[16:17]
	v_add_f64 v[10:11], v[74:75], v[10:11]
	v_add_f64 v[32:33], v[102:103], v[32:33]
	;; [unrolled: 1-line block ×5, first 2 shown]
	v_mul_f64 v[66:67], v[104:105], s[4:5]
	v_add_f64 v[44:45], v[16:17], v[44:45]
	v_add_f64 v[16:17], v[52:53], v[56:57]
	;; [unrolled: 1-line block ×5, first 2 shown]
	v_mul_f64 v[66:67], v[182:183], s[22:23]
	v_add_f64 v[2:3], v[60:61], v[2:3]
	v_mul_f64 v[60:61], v[194:195], s[18:19]
	v_add_f64 v[66:67], v[66:67], -v[94:95]
	v_mul_f64 v[94:95], v[198:199], s[12:13]
	v_add_f64 v[26:27], v[178:179], v[60:61]
	v_add_f64 v[60:61], v[72:73], v[2:3]
	;; [unrolled: 1-line block ×4, first 2 shown]
	v_fma_f64 v[66:67], v[176:177], s[24:25], v[94:95]
	v_fma_f64 v[94:95], v[176:177], s[30:31], v[94:95]
	v_add_f64 v[18:19], v[54:55], v[38:39]
	v_add_f64 v[2:3], v[36:37], v[14:15]
	;; [unrolled: 1-line block ×5, first 2 shown]
	v_fma_f64 v[66:67], v[164:165], s[2:3], -v[98:99]
	v_add_f64 v[94:95], v[94:95], v[12:13]
	v_fma_f64 v[98:99], v[164:165], s[2:3], v[98:99]
	v_add_f64 v[4:5], v[62:63], v[40:41]
	v_add_f64 v[14:15], v[76:77], v[34:35]
	;; [unrolled: 1-line block ×5, first 2 shown]
	s_waitcnt vmcnt(2)
	v_add_f64 v[20:21], v[20:21], v[0:1]
	v_add_f64 v[0:1], v[70:71], v[46:47]
	s_waitcnt vmcnt(0)
	v_add_f64 v[26:27], v[72:73], v[8:9]
	s_clause 0x1
	buffer_load_dword v8, off, s[40:43], 0 offset:856
	buffer_load_dword v9, off, s[40:43], 0 offset:860
	s_waitcnt vmcnt(0)
	v_add_f64 v[24:25], v[20:21], v[8:9]
	v_add_f64 v[20:21], v[68:69], v[92:93]
	;; [unrolled: 1-line block ×3, first 2 shown]
	ds_write_b128 v156, v[24:27] offset:704
	ds_write_b128 v156, v[20:23] offset:2048
	;; [unrolled: 1-line block ×11, first 2 shown]
.LBB0_15:
	s_or_b32 exec_lo, exec_lo, s1
	v_add_co_u32 v76, s1, 0x3800, v158
	v_add_co_ci_u32_e64 v77, s1, 0, v159, s1
	s_waitcnt lgkmcnt(0)
	s_waitcnt_vscnt null, 0x0
	s_barrier
	buffer_gl0_inv
	global_load_dwordx4 v[4:7], v[76:77], off offset:448
	v_add_co_u32 v30, s1, 0x5000, v158
	v_add_co_ci_u32_e64 v31, s1, 0, v159, s1
	v_add_co_u32 v28, s1, 0x39c0, v158
	v_add_co_ci_u32_e64 v29, s1, 0, v159, s1
	global_load_dwordx4 v[0:3], v[30:31], off offset:1696
	v_add_co_u32 v24, s1, 0x5800, v158
	v_add_co_ci_u32_e64 v25, s1, 0, v159, s1
	s_clause 0x3
	global_load_dwordx4 v[20:23], v[28:29], off offset:704
	global_load_dwordx4 v[248:251], v[24:25], off offset:352
	;; [unrolled: 1-line block ×4, first 2 shown]
	v_add_co_u32 v40, s1, 0x4000, v158
	v_add_co_ci_u32_e64 v41, s1, 0, v159, s1
	s_clause 0x2
	global_load_dwordx4 v[8:11], v[40:41], off offset:512
	global_load_dwordx4 v[24:27], v[24:25], off offset:1760
	;; [unrolled: 1-line block ×3, first 2 shown]
	v_add_co_u32 v52, s1, 0x6000, v158
	v_add_co_ci_u32_e64 v53, s1, 0, v159, s1
	s_clause 0x1
	global_load_dwordx4 v[36:39], v[52:53], off offset:416
	global_load_dwordx4 v[40:43], v[40:41], off offset:1920
	v_add_co_u32 v64, s1, 0x4800, v158
	v_add_co_ci_u32_e64 v65, s1, 0, v159, s1
	s_clause 0x3
	global_load_dwordx4 v[44:47], v[52:53], off offset:1120
	global_load_dwordx4 v[48:51], v[64:65], off offset:576
	;; [unrolled: 1-line block ×4, first 2 shown]
	v_add_co_u32 v78, s1, 0x6800, v158
	v_add_co_ci_u32_e64 v79, s1, 0, v159, s1
	s_clause 0x4
	global_load_dwordx4 v[60:63], v[78:79], off offset:480
	global_load_dwordx4 v[64:67], v[64:65], off offset:1984
	global_load_dwordx4 v[68:71], v[78:79], off offset:1184
	global_load_dwordx4 v[72:75], v[30:31], off offset:640
	global_load_dwordx4 v[92:95], v[78:79], off offset:1888
	ds_read_b128 v[96:99], v156
	ds_read_b128 v[100:103], v156 offset:7392
	ds_read_b128 v[104:107], v156 offset:704
	;; [unrolled: 1-line block ×5, first 2 shown]
	s_waitcnt vmcnt(19) lgkmcnt(5)
	v_mul_f64 v[30:31], v[98:99], v[6:7]
	v_mul_f64 v[6:7], v[96:97], v[6:7]
	s_waitcnt vmcnt(18) lgkmcnt(4)
	v_mul_f64 v[78:79], v[102:103], v[2:3]
	v_mul_f64 v[124:125], v[100:101], v[2:3]
	;; [unrolled: 3-line block ×3, first 2 shown]
	s_waitcnt vmcnt(14) lgkmcnt(0)
	v_mul_f64 v[132:133], v[116:117], v[14:15]
	v_fma_f64 v[2:3], v[96:97], v[4:5], -v[30:31]
	v_fma_f64 v[4:5], v[98:99], v[4:5], v[6:7]
	v_mul_f64 v[6:7], v[110:111], v[250:251]
	v_mul_f64 v[30:31], v[108:109], v[250:251]
	ds_read_b128 v[96:99], v156 offset:2112
	v_fma_f64 v[100:101], v[100:101], v[0:1], -v[78:79]
	v_fma_f64 v[102:103], v[102:103], v[0:1], v[124:125]
	ds_read_b128 v[124:127], v156 offset:9504
	v_mul_f64 v[0:1], v[114:115], v[18:19]
	v_mul_f64 v[78:79], v[112:113], v[18:19]
	v_fma_f64 v[18:19], v[104:105], v[20:21], -v[128:129]
	v_fma_f64 v[20:21], v[106:107], v[20:21], v[22:23]
	v_mul_f64 v[22:23], v[118:119], v[14:15]
	v_fma_f64 v[104:105], v[108:109], v[248:249], -v[6:7]
	v_fma_f64 v[106:107], v[110:111], v[248:249], v[30:31]
	ds_read_b128 v[108:111], v156 offset:2816
	ds_read_b128 v[128:131], v156 offset:10208
	s_waitcnt vmcnt(13) lgkmcnt(3)
	v_mul_f64 v[6:7], v[98:99], v[10:11]
	v_mul_f64 v[30:31], v[96:97], v[10:11]
	v_fma_f64 v[14:15], v[112:113], v[16:17], -v[0:1]
	v_fma_f64 v[16:17], v[114:115], v[16:17], v[78:79]
	s_waitcnt vmcnt(12) lgkmcnt(2)
	v_mul_f64 v[0:1], v[126:127], v[26:27]
	v_mul_f64 v[26:27], v[124:125], v[26:27]
	v_fma_f64 v[10:11], v[116:117], v[12:13], -v[22:23]
	v_fma_f64 v[12:13], v[118:119], v[12:13], v[132:133]
	ds_read_b128 v[112:115], v156 offset:3520
	ds_read_b128 v[116:119], v156 offset:10912
	s_waitcnt vmcnt(11) lgkmcnt(3)
	v_mul_f64 v[78:79], v[110:111], v[34:35]
	v_mul_f64 v[34:35], v[108:109], v[34:35]
	s_waitcnt vmcnt(10) lgkmcnt(2)
	v_mul_f64 v[132:133], v[130:131], v[38:39]
	v_mul_f64 v[38:39], v[128:129], v[38:39]
	v_fma_f64 v[6:7], v[96:97], v[8:9], -v[6:7]
	v_fma_f64 v[8:9], v[98:99], v[8:9], v[30:31]
	ds_read_b128 v[96:99], v156 offset:4224
	v_fma_f64 v[22:23], v[124:125], v[24:25], -v[0:1]
	v_fma_f64 v[24:25], v[126:127], v[24:25], v[26:27]
	s_waitcnt vmcnt(9) lgkmcnt(2)
	v_mul_f64 v[0:1], v[114:115], v[42:43]
	v_mul_f64 v[26:27], v[112:113], v[42:43]
	ds_read_b128 v[124:127], v156 offset:11616
	v_fma_f64 v[30:31], v[108:109], v[32:33], -v[78:79]
	v_fma_f64 v[32:33], v[110:111], v[32:33], v[34:35]
	v_fma_f64 v[34:35], v[128:129], v[36:37], -v[132:133]
	v_fma_f64 v[36:37], v[130:131], v[36:37], v[38:39]
	s_waitcnt vmcnt(7) lgkmcnt(1)
	v_mul_f64 v[78:79], v[98:99], v[50:51]
	v_mul_f64 v[50:51], v[96:97], v[50:51]
	ds_read_b128 v[128:131], v156 offset:12320
	v_mul_f64 v[42:43], v[118:119], v[46:47]
	v_mul_f64 v[46:47], v[116:117], v[46:47]
	ds_read_b128 v[108:111], v156 offset:4928
	v_fma_f64 v[38:39], v[112:113], v[40:41], -v[0:1]
	v_fma_f64 v[40:41], v[114:115], v[40:41], v[26:27]
	ds_read_b128 v[112:115], v156 offset:5632
	v_fma_f64 v[42:43], v[116:117], v[44:45], -v[42:43]
	v_fma_f64 v[44:45], v[118:119], v[44:45], v[46:47]
	v_fma_f64 v[46:47], v[96:97], v[48:49], -v[78:79]
	v_fma_f64 v[48:49], v[98:99], v[48:49], v[50:51]
	ds_read_b128 v[96:99], v156 offset:6336
	s_waitcnt vmcnt(6) lgkmcnt(4)
	v_mul_f64 v[0:1], v[126:127], v[54:55]
	v_mul_f64 v[26:27], v[124:125], v[54:55]
	s_waitcnt vmcnt(5) lgkmcnt(2)
	v_mul_f64 v[54:55], v[110:111], v[58:59]
	v_mul_f64 v[58:59], v[108:109], v[58:59]
	ds_read_b128 v[116:119], v156 offset:13024
	s_waitcnt vmcnt(4)
	v_mul_f64 v[78:79], v[130:131], v[62:63]
	v_mul_f64 v[62:63], v[128:129], v[62:63]
	v_fma_f64 v[50:51], v[124:125], v[52:53], -v[0:1]
	v_fma_f64 v[52:53], v[126:127], v[52:53], v[26:27]
	ds_read_b128 v[124:127], v156 offset:13728
	s_waitcnt vmcnt(3) lgkmcnt(3)
	v_mul_f64 v[0:1], v[114:115], v[66:67]
	v_mul_f64 v[26:27], v[112:113], v[66:67]
	s_waitcnt vmcnt(2) lgkmcnt(1)
	v_mul_f64 v[66:67], v[118:119], v[70:71]
	v_mul_f64 v[70:71], v[116:117], v[70:71]
	v_fma_f64 v[54:55], v[108:109], v[56:57], -v[54:55]
	s_waitcnt vmcnt(1)
	v_mul_f64 v[108:109], v[98:99], v[74:75]
	v_mul_f64 v[74:75], v[96:97], v[74:75]
	v_fma_f64 v[56:57], v[110:111], v[56:57], v[58:59]
	v_fma_f64 v[58:59], v[128:129], v[60:61], -v[78:79]
	v_fma_f64 v[60:61], v[130:131], v[60:61], v[62:63]
	s_waitcnt vmcnt(0) lgkmcnt(0)
	v_mul_f64 v[78:79], v[126:127], v[94:95]
	v_mul_f64 v[110:111], v[124:125], v[94:95]
	v_fma_f64 v[62:63], v[112:113], v[64:65], -v[0:1]
	v_fma_f64 v[64:65], v[114:115], v[64:65], v[26:27]
	v_fma_f64 v[66:67], v[116:117], v[68:69], -v[66:67]
	v_fma_f64 v[68:69], v[118:119], v[68:69], v[70:71]
	;; [unrolled: 2-line block ×4, first 2 shown]
	ds_write_b128 v156, v[2:5]
	ds_write_b128 v156, v[100:103] offset:7392
	ds_write_b128 v156, v[18:21] offset:704
	;; [unrolled: 1-line block ×19, first 2 shown]
	s_and_saveexec_b32 s2, vcc_lo
	s_cbranch_execz .LBB0_17
; %bb.16:
	v_add_co_u32 v0, s1, 0x1800, v28
	v_add_co_ci_u32_e64 v1, s1, 0, v29, s1
	v_add_co_u32 v4, s1, 0x3800, v28
	v_add_co_ci_u32_e64 v5, s1, 0, v29, s1
	s_clause 0x1
	global_load_dwordx4 v[0:3], v[0:1], off offset:896
	global_load_dwordx4 v[4:7], v[4:5], off offset:96
	ds_read_b128 v[8:11], v156 offset:7040
	ds_read_b128 v[12:15], v156 offset:14432
	s_waitcnt vmcnt(1) lgkmcnt(1)
	v_mul_f64 v[16:17], v[10:11], v[2:3]
	v_mul_f64 v[2:3], v[8:9], v[2:3]
	s_waitcnt vmcnt(0) lgkmcnt(0)
	v_mul_f64 v[18:19], v[14:15], v[6:7]
	v_mul_f64 v[20:21], v[12:13], v[6:7]
	v_fma_f64 v[6:7], v[8:9], v[0:1], -v[16:17]
	v_fma_f64 v[8:9], v[10:11], v[0:1], v[2:3]
	v_fma_f64 v[0:1], v[12:13], v[4:5], -v[18:19]
	v_fma_f64 v[2:3], v[14:15], v[4:5], v[20:21]
	ds_write_b128 v156, v[6:9] offset:7040
	ds_write_b128 v156, v[0:3] offset:14432
.LBB0_17:
	s_or_b32 exec_lo, exec_lo, s2
	s_waitcnt lgkmcnt(0)
	s_barrier
	buffer_gl0_inv
	ds_read_b128 v[0:3], v156
	ds_read_b128 v[8:11], v156 offset:704
	ds_read_b128 v[72:75], v156 offset:7392
	;; [unrolled: 1-line block ×19, first 2 shown]
	s_mov_b32 s1, exec_lo
	buffer_load_dword v169, off, s[40:43], 0 ; 4-byte Folded Reload
	s_and_b32 s2, s1, vcc_lo
	s_mov_b32 exec_lo, s2
	s_cbranch_execz .LBB0_19
; %bb.18:
	ds_read_b128 v[252:255], v156 offset:7040
	ds_read_b128 v[244:247], v156 offset:14432
.LBB0_19:
	s_or_b32 exec_lo, exec_lo, s1
	s_waitcnt vmcnt(0) lgkmcnt(0)
	s_barrier
	buffer_gl0_inv
	buffer_load_dword v78, off, s[40:43], 0 offset:340 ; 4-byte Folded Reload
	v_add_f64 v[72:73], v[0:1], -v[72:73]
	v_add_f64 v[74:75], v[2:3], -v[74:75]
	;; [unrolled: 1-line block ×22, first 2 shown]
	v_fma_f64 v[96:97], v[0:1], 2.0, -v[72:73]
	v_fma_f64 v[98:99], v[2:3], 2.0, -v[74:75]
	;; [unrolled: 1-line block ×22, first 2 shown]
	s_waitcnt vmcnt(0)
	ds_write_b128 v78, v[96:99]
	ds_write_b128 v78, v[72:75] offset:16
	buffer_load_dword v72, off, s[40:43], 0 offset:344 ; 4-byte Folded Reload
	s_waitcnt vmcnt(0)
	ds_write_b128 v72, v[8:11]
	ds_write_b128 v72, v[68:71] offset:16
	buffer_load_dword v8, off, s[40:43], 0 offset:348 ; 4-byte Folded Reload
	;; [unrolled: 4-line block ×9, first 2 shown]
	s_waitcnt vmcnt(0)
	ds_write_b128 v8, v[36:39]
	ds_write_b128 v8, v[92:95] offset:16
	s_and_saveexec_b32 s1, vcc_lo
	s_cbranch_execz .LBB0_21
; %bb.20:
	buffer_load_dword v8, off, s[40:43], 0 offset:692 ; 4-byte Folded Reload
	s_waitcnt vmcnt(0)
	ds_write_b128 v8, v[0:3]
	ds_write_b128 v8, v[4:7] offset:16
.LBB0_21:
	s_or_b32 exec_lo, exec_lo, s1
	s_waitcnt lgkmcnt(0)
	s_barrier
	buffer_gl0_inv
	ds_read_b128 v[8:11], v156
	ds_read_b128 v[12:15], v156 offset:704
	ds_read_b128 v[72:75], v156 offset:7392
	;; [unrolled: 1-line block ×19, first 2 shown]
	s_and_saveexec_b32 s1, vcc_lo
	s_cbranch_execz .LBB0_23
; %bb.22:
	ds_read_b128 v[0:3], v156 offset:7040
	ds_read_b128 v[4:7], v156 offset:14432
.LBB0_23:
	s_or_b32 exec_lo, exec_lo, s1
	s_waitcnt lgkmcnt(17)
	v_mul_f64 v[78:79], v[86:87], v[74:75]
	v_mul_f64 v[92:93], v[86:87], v[72:73]
	s_waitcnt lgkmcnt(12)
	v_mul_f64 v[104:105], v[86:87], v[56:57]
	s_waitcnt lgkmcnt(9)
	v_mul_f64 v[106:107], v[86:87], v[66:67]
	v_mul_f64 v[108:109], v[86:87], v[64:65]
	s_waitcnt lgkmcnt(8)
	v_mul_f64 v[110:111], v[86:87], v[38:39]
	v_mul_f64 v[94:95], v[86:87], v[70:71]
	;; [unrolled: 1-line block ×6, first 2 shown]
	s_waitcnt lgkmcnt(0)
	s_barrier
	buffer_gl0_inv
	v_fma_f64 v[72:73], v[84:85], v[72:73], v[78:79]
	v_mul_f64 v[78:79], v[86:87], v[36:37]
	v_fma_f64 v[58:59], v[84:85], v[58:59], -v[104:105]
	v_fma_f64 v[64:65], v[84:85], v[64:65], v[106:107]
	v_fma_f64 v[66:67], v[84:85], v[66:67], -v[108:109]
	v_mul_f64 v[106:107], v[86:87], v[48:49]
	v_fma_f64 v[108:109], v[84:85], v[36:37], v[110:111]
	v_mul_f64 v[110:111], v[86:87], v[6:7]
	v_fma_f64 v[74:75], v[84:85], v[74:75], -v[92:93]
	v_mul_f64 v[92:93], v[86:87], v[46:47]
	v_fma_f64 v[68:69], v[84:85], v[68:69], v[94:95]
	v_fma_f64 v[70:71], v[84:85], v[70:71], -v[96:97]
	v_mul_f64 v[94:95], v[86:87], v[44:45]
	v_mul_f64 v[96:97], v[86:87], v[42:43]
	v_fma_f64 v[60:61], v[84:85], v[60:61], v[98:99]
	v_fma_f64 v[62:63], v[84:85], v[62:63], -v[100:101]
	v_fma_f64 v[56:57], v[84:85], v[56:57], v[102:103]
	v_mul_f64 v[98:99], v[86:87], v[40:41]
	v_mul_f64 v[100:101], v[86:87], v[54:55]
	;; [unrolled: 1-line block ×5, first 2 shown]
	v_add_f64 v[36:37], v[8:9], -v[72:73]
	v_fma_f64 v[78:79], v[84:85], v[38:39], -v[78:79]
	v_fma_f64 v[106:107], v[84:85], v[50:51], -v[106:107]
	v_add_f64 v[50:51], v[26:27], -v[58:59]
	v_add_f64 v[38:39], v[10:11], -v[74:75]
	v_fma_f64 v[92:93], v[84:85], v[44:45], v[92:93]
	v_fma_f64 v[94:95], v[84:85], v[46:47], -v[94:95]
	v_fma_f64 v[96:97], v[84:85], v[40:41], v[96:97]
	v_add_f64 v[40:41], v[12:13], -v[68:69]
	v_add_f64 v[44:45], v[20:21], -v[60:61]
	;; [unrolled: 1-line block ×3, first 2 shown]
	v_fma_f64 v[98:99], v[84:85], v[42:43], -v[98:99]
	v_fma_f64 v[100:101], v[84:85], v[52:53], v[100:101]
	v_fma_f64 v[102:103], v[84:85], v[54:55], -v[102:103]
	v_fma_f64 v[104:105], v[84:85], v[48:49], v[104:105]
	v_fma_f64 v[86:87], v[84:85], v[6:7], -v[86:87]
	v_add_f64 v[42:43], v[14:15], -v[70:71]
	v_add_f64 v[58:59], v[250:251], -v[78:79]
	v_fma_f64 v[78:79], v[84:85], v[4:5], v[110:111]
	v_fma_f64 v[4:5], v[8:9], 2.0, -v[36:37]
	v_add_f64 v[48:49], v[24:25], -v[56:57]
	v_add_f64 v[52:53], v[244:245], -v[64:65]
	;; [unrolled: 1-line block ×4, first 2 shown]
	v_fma_f64 v[6:7], v[10:11], 2.0, -v[38:39]
	v_add_f64 v[60:61], v[252:253], -v[92:93]
	v_add_f64 v[74:75], v[18:19], -v[106:107]
	v_add_f64 v[62:63], v[254:255], -v[94:95]
	v_add_f64 v[64:65], v[28:29], -v[96:97]
	v_fma_f64 v[8:9], v[12:13], 2.0, -v[40:41]
	v_fma_f64 v[12:13], v[20:21], 2.0, -v[44:45]
	v_add_f64 v[66:67], v[30:31], -v[98:99]
	v_add_f64 v[68:69], v[32:33], -v[100:101]
	;; [unrolled: 1-line block ×5, first 2 shown]
	v_fma_f64 v[10:11], v[14:15], 2.0, -v[42:43]
	v_fma_f64 v[14:15], v[22:23], 2.0, -v[46:47]
	v_add_f64 v[84:85], v[0:1], -v[78:79]
	buffer_load_dword v78, off, s[40:43], 0 offset:416 ; 4-byte Folded Reload
	v_fma_f64 v[20:21], v[24:25], 2.0, -v[48:49]
	v_fma_f64 v[22:23], v[26:27], 2.0, -v[50:51]
	;; [unrolled: 1-line block ×10, first 2 shown]
	s_waitcnt vmcnt(0)
	ds_write_b128 v78, v[4:7]
	ds_write_b128 v78, v[36:39] offset:32
	buffer_load_dword v4, off, s[40:43], 0 offset:412 ; 4-byte Folded Reload
	v_fma_f64 v[30:31], v[30:31], 2.0, -v[66:67]
	v_fma_f64 v[32:33], v[32:33], 2.0, -v[68:69]
	v_fma_f64 v[34:35], v[34:35], 2.0, -v[70:71]
	v_fma_f64 v[16:17], v[16:17], 2.0, -v[72:73]
	s_waitcnt vmcnt(0)
	ds_write_b128 v4, v[8:11]
	ds_write_b128 v4, v[40:43] offset:32
	buffer_load_dword v4, off, s[40:43], 0 offset:408 ; 4-byte Folded Reload
	s_waitcnt vmcnt(0)
	ds_write_b128 v4, v[12:15]
	ds_write_b128 v4, v[44:47] offset:32
	buffer_load_dword v4, off, s[40:43], 0 offset:404 ; 4-byte Folded Reload
	;; [unrolled: 4-line block ×8, first 2 shown]
	s_waitcnt vmcnt(0)
	ds_write_b128 v4, v[16:19]
	ds_write_b128 v4, v[72:75] offset:32
	s_and_saveexec_b32 s1, vcc_lo
	s_cbranch_execz .LBB0_25
; %bb.24:
	s_clause 0x1
	buffer_load_dword v4, off, s[40:43], 0 offset:688
	buffer_load_dword v5, off, s[40:43], 0 offset:352
	v_fma_f64 v[2:3], v[2:3], 2.0, -v[86:87]
	v_fma_f64 v[0:1], v[0:1], 2.0, -v[84:85]
	s_waitcnt vmcnt(0)
	v_and_or_b32 v4, 0x3fc, v5, v4
	v_lshlrev_b32_e32 v4, 4, v4
	ds_write_b128 v4, v[0:3]
	ds_write_b128 v4, v[84:87] offset:32
.LBB0_25:
	s_or_b32 exec_lo, exec_lo, s1
	s_waitcnt lgkmcnt(0)
	s_barrier
	buffer_gl0_inv
	ds_read_b128 v[0:3], v156 offset:4928
	ds_read_b128 v[4:7], v156 offset:5632
	;; [unrolled: 1-line block ×5, first 2 shown]
	s_mov_b32 s2, 0xe8584caa
	s_mov_b32 s3, 0xbfebb67a
	;; [unrolled: 1-line block ×15, first 2 shown]
	s_waitcnt lgkmcnt(4)
	v_mul_f64 v[20:21], v[90:91], v[2:3]
	v_mul_f64 v[22:23], v[90:91], v[0:1]
	s_waitcnt lgkmcnt(3)
	v_mul_f64 v[24:25], v[90:91], v[6:7]
	v_mul_f64 v[26:27], v[90:91], v[4:5]
	;; [unrolled: 3-line block ×3, first 2 shown]
	s_mov_b32 s17, 0xbfd5d0dc
	s_mov_b32 s25, 0x3fd5d0dc
	;; [unrolled: 1-line block ×5, first 2 shown]
	v_fma_f64 v[20:21], v[88:89], v[0:1], v[20:21]
	v_fma_f64 v[22:23], v[88:89], v[2:3], -v[22:23]
	ds_read_b128 v[0:3], v156 offset:7744
	v_fma_f64 v[36:37], v[88:89], v[4:5], v[24:25]
	v_fma_f64 v[38:39], v[88:89], v[6:7], -v[26:27]
	s_waitcnt lgkmcnt(1)
	v_mul_f64 v[4:5], v[90:91], v[18:19]
	v_mul_f64 v[6:7], v[90:91], v[16:17]
	v_fma_f64 v[40:41], v[88:89], v[8:9], v[28:29]
	v_fma_f64 v[42:43], v[88:89], v[10:11], -v[30:31]
	s_waitcnt lgkmcnt(0)
	v_mul_f64 v[8:9], v[90:91], v[2:3]
	v_mul_f64 v[10:11], v[90:91], v[0:1]
	v_fma_f64 v[44:45], v[88:89], v[16:17], v[4:5]
	v_fma_f64 v[46:47], v[88:89], v[18:19], -v[6:7]
	ds_read_b128 v[4:7], v156 offset:8448
	v_fma_f64 v[48:49], v[88:89], v[0:1], v[8:9]
	v_fma_f64 v[50:51], v[88:89], v[2:3], -v[10:11]
	ds_read_b128 v[0:3], v156 offset:9152
	s_waitcnt lgkmcnt(1)
	v_mul_f64 v[8:9], v[90:91], v[6:7]
	v_fma_f64 v[52:53], v[88:89], v[4:5], v[8:9]
	v_mul_f64 v[4:5], v[90:91], v[4:5]
	v_fma_f64 v[54:55], v[88:89], v[6:7], -v[4:5]
	s_waitcnt lgkmcnt(0)
	v_mul_f64 v[4:5], v[90:91], v[2:3]
	v_fma_f64 v[56:57], v[88:89], v[0:1], v[4:5]
	v_mul_f64 v[0:1], v[90:91], v[0:1]
	v_fma_f64 v[58:59], v[88:89], v[2:3], -v[0:1]
	ds_read_b128 v[0:3], v156 offset:9856
	ds_read_b128 v[4:7], v156 offset:10560
	s_waitcnt lgkmcnt(1)
	v_mul_f64 v[8:9], v[82:83], v[2:3]
	v_fma_f64 v[8:9], v[80:81], v[0:1], v[8:9]
	v_mul_f64 v[0:1], v[82:83], v[0:1]
	v_fma_f64 v[10:11], v[80:81], v[2:3], -v[0:1]
	s_waitcnt lgkmcnt(0)
	v_mul_f64 v[0:1], v[82:83], v[6:7]
	v_add_f64 v[18:19], v[22:23], v[10:11]
	v_fma_f64 v[60:61], v[80:81], v[4:5], v[0:1]
	v_mul_f64 v[0:1], v[82:83], v[4:5]
	v_fma_f64 v[62:63], v[80:81], v[6:7], -v[0:1]
	ds_read_b128 v[0:3], v156 offset:11264
	ds_read_b128 v[4:7], v156 offset:11968
	s_waitcnt lgkmcnt(1)
	v_mul_f64 v[16:17], v[82:83], v[2:3]
	v_fma_f64 v[64:65], v[80:81], v[0:1], v[16:17]
	v_mul_f64 v[0:1], v[82:83], v[0:1]
	v_fma_f64 v[66:67], v[80:81], v[2:3], -v[0:1]
	s_waitcnt lgkmcnt(0)
	v_mul_f64 v[0:1], v[82:83], v[6:7]
	v_fma_f64 v[68:69], v[80:81], v[4:5], v[0:1]
	v_mul_f64 v[0:1], v[82:83], v[4:5]
	v_fma_f64 v[70:71], v[80:81], v[6:7], -v[0:1]
	ds_read_b128 v[0:3], v156 offset:12672
	ds_read_b128 v[4:7], v156 offset:13376
	s_waitcnt lgkmcnt(1)
	v_mul_f64 v[16:17], v[82:83], v[2:3]
	v_fma_f64 v[72:73], v[80:81], v[0:1], v[16:17]
	v_mul_f64 v[0:1], v[82:83], v[0:1]
	v_add_f64 v[16:17], v[20:21], v[8:9]
	v_fma_f64 v[74:75], v[80:81], v[2:3], -v[0:1]
	s_waitcnt lgkmcnt(0)
	v_mul_f64 v[0:1], v[82:83], v[6:7]
	v_fma_f64 v[78:79], v[80:81], v[4:5], v[0:1]
	v_mul_f64 v[0:1], v[82:83], v[4:5]
	v_fma_f64 v[88:89], v[80:81], v[6:7], -v[0:1]
	ds_read_b128 v[0:3], v156 offset:14080
	s_waitcnt lgkmcnt(0)
	v_mul_f64 v[4:5], v[82:83], v[2:3]
	v_fma_f64 v[90:91], v[80:81], v[0:1], v[4:5]
	v_mul_f64 v[0:1], v[82:83], v[0:1]
	v_fma_f64 v[80:81], v[80:81], v[2:3], -v[0:1]
	ds_read_b128 v[0:3], v156
	ds_read_b128 v[4:7], v156 offset:704
	s_waitcnt lgkmcnt(1)
	v_fma_f64 v[16:17], v[16:17], -0.5, v[0:1]
	v_fma_f64 v[18:19], v[18:19], -0.5, v[2:3]
	v_add_f64 v[2:3], v[2:3], v[22:23]
	v_add_f64 v[0:1], v[0:1], v[20:21]
	v_add_f64 v[22:23], v[22:23], -v[10:11]
	v_add_f64 v[20:21], v[20:21], -v[8:9]
	v_add_f64 v[2:3], v[2:3], v[10:11]
	v_add_f64 v[0:1], v[0:1], v[8:9]
	v_fma_f64 v[8:9], v[22:23], s[2:3], v[16:17]
	v_fma_f64 v[16:17], v[22:23], s[4:5], v[16:17]
	;; [unrolled: 1-line block ×4, first 2 shown]
	ds_read_b128 v[20:23], v156 offset:1408
	ds_read_b128 v[24:27], v156 offset:2112
	;; [unrolled: 1-line block ×4, first 2 shown]
	s_waitcnt lgkmcnt(0)
	s_barrier
	buffer_gl0_inv
	buffer_load_dword v82, off, s[40:43], 0 offset:672 ; 4-byte Folded Reload
	s_waitcnt vmcnt(0)
	ds_write_b128 v82, v[0:3]
	ds_write_b128 v82, v[8:11] offset:64
	ds_write_b128 v82, v[16:19] offset:128
	v_add_f64 v[0:1], v[36:37], v[60:61]
	v_add_f64 v[16:17], v[36:37], -v[60:61]
	v_fma_f64 v[8:9], v[0:1], -0.5, v[4:5]
	v_add_f64 v[0:1], v[38:39], v[62:63]
	v_add_f64 v[4:5], v[4:5], v[36:37]
	v_fma_f64 v[10:11], v[0:1], -0.5, v[6:7]
	v_add_f64 v[0:1], v[6:7], v[38:39]
	v_add_f64 v[6:7], v[38:39], -v[62:63]
	v_add_f64 v[2:3], v[0:1], v[62:63]
	v_add_f64 v[0:1], v[4:5], v[60:61]
	v_fma_f64 v[4:5], v[6:7], s[2:3], v[8:9]
	v_fma_f64 v[8:9], v[6:7], s[4:5], v[8:9]
	;; [unrolled: 1-line block ×4, first 2 shown]
	buffer_load_dword v16, off, s[40:43], 0 offset:668 ; 4-byte Folded Reload
	s_waitcnt vmcnt(0)
	ds_write_b128 v16, v[0:3]
	ds_write_b128 v16, v[4:7] offset:64
	ds_write_b128 v16, v[8:11] offset:128
	v_add_f64 v[0:1], v[40:41], v[64:65]
	v_add_f64 v[4:5], v[20:21], v[40:41]
	v_add_f64 v[8:9], v[42:43], -v[66:67]
	v_add_f64 v[16:17], v[40:41], -v[64:65]
	;; [unrolled: 1-line block ×3, first 2 shown]
	v_fma_f64 v[6:7], v[0:1], -0.5, v[20:21]
	v_add_f64 v[0:1], v[42:43], v[66:67]
	v_add_f64 v[20:21], v[28:29], v[48:49]
	v_fma_f64 v[10:11], v[0:1], -0.5, v[22:23]
	v_add_f64 v[0:1], v[22:23], v[42:43]
	v_add_f64 v[2:3], v[0:1], v[66:67]
	;; [unrolled: 1-line block ×3, first 2 shown]
	v_fma_f64 v[4:5], v[8:9], s[2:3], v[6:7]
	v_fma_f64 v[8:9], v[8:9], s[4:5], v[6:7]
	;; [unrolled: 1-line block ×4, first 2 shown]
	buffer_load_dword v16, off, s[40:43], 0 offset:664 ; 4-byte Folded Reload
	s_waitcnt vmcnt(0)
	ds_write_b128 v16, v[0:3]
	ds_write_b128 v16, v[4:7] offset:64
	ds_write_b128 v16, v[8:11] offset:128
	v_add_f64 v[0:1], v[44:45], v[68:69]
	v_add_f64 v[4:5], v[24:25], v[44:45]
	v_add_f64 v[8:9], v[46:47], -v[70:71]
	v_add_f64 v[16:17], v[44:45], -v[68:69]
	;; [unrolled: 1-line block ×3, first 2 shown]
	v_fma_f64 v[6:7], v[0:1], -0.5, v[24:25]
	v_add_f64 v[0:1], v[46:47], v[70:71]
	v_add_f64 v[24:25], v[50:51], -v[74:75]
	v_fma_f64 v[10:11], v[0:1], -0.5, v[26:27]
	v_add_f64 v[0:1], v[26:27], v[46:47]
	v_add_f64 v[2:3], v[0:1], v[70:71]
	;; [unrolled: 1-line block ×3, first 2 shown]
	v_fma_f64 v[4:5], v[8:9], s[2:3], v[6:7]
	v_fma_f64 v[8:9], v[8:9], s[4:5], v[6:7]
	;; [unrolled: 1-line block ×4, first 2 shown]
	v_add_f64 v[16:17], v[48:49], v[72:73]
	v_fma_f64 v[22:23], v[16:17], -0.5, v[28:29]
	v_add_f64 v[16:17], v[50:51], v[74:75]
	v_add_f64 v[28:29], v[48:49], -v[72:73]
	v_add_f64 v[48:49], v[56:57], -v[90:91]
	v_fma_f64 v[26:27], v[16:17], -0.5, v[30:31]
	v_add_f64 v[16:17], v[30:31], v[50:51]
	v_add_f64 v[18:19], v[16:17], v[74:75]
	v_add_f64 v[16:17], v[20:21], v[72:73]
	v_fma_f64 v[20:21], v[24:25], s[2:3], v[22:23]
	v_fma_f64 v[24:25], v[24:25], s[4:5], v[22:23]
	;; [unrolled: 1-line block ×4, first 2 shown]
	v_add_f64 v[28:29], v[52:53], v[78:79]
	v_fma_f64 v[36:37], v[28:29], -0.5, v[32:33]
	v_add_f64 v[28:29], v[54:55], v[88:89]
	v_add_f64 v[32:33], v[32:33], v[52:53]
	v_fma_f64 v[38:39], v[28:29], -0.5, v[34:35]
	v_add_f64 v[28:29], v[34:35], v[54:55]
	v_add_f64 v[34:35], v[54:55], -v[88:89]
	v_add_f64 v[30:31], v[28:29], v[88:89]
	v_add_f64 v[28:29], v[32:33], v[78:79]
	v_fma_f64 v[32:33], v[34:35], s[2:3], v[36:37]
	v_fma_f64 v[36:37], v[34:35], s[4:5], v[36:37]
	;; [unrolled: 1-line block ×4, first 2 shown]
	v_add_f64 v[40:41], v[56:57], v[90:91]
	v_fma_f64 v[42:43], v[40:41], -0.5, v[12:13]
	v_add_f64 v[40:41], v[58:59], v[80:81]
	v_add_f64 v[12:13], v[12:13], v[56:57]
	v_fma_f64 v[46:47], v[40:41], -0.5, v[14:15]
	v_fma_f64 v[40:41], v[44:45], s[2:3], v[42:43]
	v_fma_f64 v[44:45], v[44:45], s[4:5], v[42:43]
	v_add_f64 v[14:15], v[14:15], v[58:59]
	v_add_f64 v[12:13], v[12:13], v[90:91]
	v_fma_f64 v[42:43], v[48:49], s[4:5], v[46:47]
	v_fma_f64 v[46:47], v[48:49], s[2:3], v[46:47]
	buffer_load_dword v48, off, s[40:43], 0 offset:660 ; 4-byte Folded Reload
	v_add_f64 v[14:15], v[14:15], v[80:81]
	s_mov_b32 s4, 0x36b3c0b5
	s_mov_b32 s5, 0x3fac98ee
	;; [unrolled: 1-line block ×4, first 2 shown]
	s_waitcnt vmcnt(0)
	ds_write_b128 v48, v[0:3]
	ds_write_b128 v48, v[4:7] offset:64
	ds_write_b128 v48, v[8:11] offset:128
	buffer_load_dword v0, off, s[40:43], 0 offset:656 ; 4-byte Folded Reload
	s_waitcnt vmcnt(0)
	ds_write_b128 v0, v[16:19]
	ds_write_b128 v0, v[20:23] offset:64
	ds_write_b128 v0, v[24:27] offset:128
	buffer_load_dword v0, off, s[40:43], 0 offset:652 ; 4-byte Folded Reload
	;; [unrolled: 5-line block ×3, first 2 shown]
	s_waitcnt vmcnt(0)
	ds_write_b128 v0, v[12:15]
	ds_write_b128 v0, v[40:43] offset:64
	ds_write_b128 v0, v[44:47] offset:128
	s_waitcnt lgkmcnt(0)
	s_barrier
	buffer_gl0_inv
	ds_read_b128 v[4:7], v156 offset:2112
	ds_read_b128 v[8:11], v156 offset:4224
	;; [unrolled: 1-line block ×4, first 2 shown]
	s_clause 0x3
	buffer_load_dword v46, off, s[40:43], 0 offset:472
	buffer_load_dword v47, off, s[40:43], 0 offset:476
	;; [unrolled: 1-line block ×4, first 2 shown]
	ds_read_b128 v[16:19], v156 offset:10560
	ds_read_b128 v[20:23], v156 offset:4928
	s_clause 0x3
	buffer_load_dword v54, off, s[40:43], 0 offset:456
	buffer_load_dword v55, off, s[40:43], 0 offset:460
	;; [unrolled: 1-line block ×4, first 2 shown]
	ds_read_b128 v[24:27], v156 offset:6336
	ds_read_b128 v[28:31], v156 offset:13376
	s_clause 0x3
	buffer_load_dword v60, off, s[40:43], 0 offset:552
	buffer_load_dword v61, off, s[40:43], 0 offset:556
	;; [unrolled: 1-line block ×4, first 2 shown]
	s_waitcnt vmcnt(8) lgkmcnt(7)
	v_mul_f64 v[32:33], v[48:49], v[6:7]
	v_mul_f64 v[34:35], v[48:49], v[4:5]
	s_waitcnt vmcnt(4) lgkmcnt(6)
	v_mul_f64 v[36:37], v[56:57], v[10:11]
	v_mul_f64 v[38:39], v[56:57], v[8:9]
	;; [unrolled: 3-line block ×3, first 2 shown]
	v_fma_f64 v[44:45], v[46:47], v[4:5], v[32:33]
	v_fma_f64 v[46:47], v[46:47], v[6:7], -v[34:35]
	ds_read_b128 v[4:7], v156 offset:9856
	s_clause 0x3
	buffer_load_dword v56, off, s[40:43], 0 offset:536
	buffer_load_dword v57, off, s[40:43], 0 offset:540
	;; [unrolled: 1-line block ×4, first 2 shown]
	ds_read_b128 v[32:35], v156 offset:8448
	v_fma_f64 v[52:53], v[54:55], v[8:9], v[36:37]
	v_fma_f64 v[54:55], v[54:55], v[10:11], -v[38:39]
	ds_read_b128 v[8:11], v156 offset:5632
	s_clause 0x3
	buffer_load_dword v62, off, s[40:43], 0 offset:440
	buffer_load_dword v63, off, s[40:43], 0 offset:444
	buffer_load_dword v64, off, s[40:43], 0 offset:448
	buffer_load_dword v65, off, s[40:43], 0 offset:452
	v_fma_f64 v[40:41], v[60:61], v[12:13], v[40:41]
	v_fma_f64 v[42:43], v[60:61], v[14:15], -v[42:43]
	ds_read_b128 v[12:15], v156 offset:2816
	s_waitcnt lgkmcnt(1)
	v_mul_f64 v[102:103], v[122:123], v[8:9]
	v_add_f64 v[82:83], v[44:45], v[40:41]
	v_add_f64 v[40:41], v[44:45], -v[40:41]
	s_waitcnt vmcnt(4)
	v_mul_f64 v[48:49], v[58:59], v[18:19]
	v_mul_f64 v[50:51], v[58:59], v[16:17]
	s_waitcnt vmcnt(0)
	v_mul_f64 v[36:37], v[64:65], v[26:27]
	v_mul_f64 v[38:39], v[64:65], v[24:25]
	v_fma_f64 v[48:49], v[56:57], v[16:17], v[48:49]
	v_fma_f64 v[50:51], v[56:57], v[18:19], -v[50:51]
	ds_read_b128 v[16:19], v156 offset:9152
	s_clause 0x3
	buffer_load_dword v68, off, s[40:43], 0 offset:424
	buffer_load_dword v69, off, s[40:43], 0 offset:428
	;; [unrolled: 1-line block ×4, first 2 shown]
	v_fma_f64 v[60:61], v[62:63], v[24:25], v[36:37]
	v_fma_f64 v[62:63], v[62:63], v[26:27], -v[38:39]
	ds_read_b128 v[24:27], v156 offset:3520
	s_waitcnt vmcnt(0)
	v_mul_f64 v[56:57], v[70:71], v[34:35]
	v_mul_f64 v[58:59], v[70:71], v[32:33]
	s_clause 0x3
	buffer_load_dword v70, off, s[40:43], 0 offset:520
	buffer_load_dword v71, off, s[40:43], 0 offset:524
	;; [unrolled: 1-line block ×4, first 2 shown]
	ds_read_b128 v[36:39], v156 offset:7040
	s_clause 0x3
	buffer_load_dword v78, off, s[40:43], 0 offset:504
	buffer_load_dword v79, off, s[40:43], 0 offset:508
	;; [unrolled: 1-line block ×4, first 2 shown]
	v_fma_f64 v[56:57], v[68:69], v[32:33], v[56:57]
	v_fma_f64 v[58:59], v[68:69], v[34:35], -v[58:59]
	s_waitcnt vmcnt(4) lgkmcnt(3)
	v_mul_f64 v[64:65], v[72:73], v[14:15]
	v_mul_f64 v[66:67], v[72:73], v[12:13]
	s_waitcnt vmcnt(0)
	v_mul_f64 v[32:33], v[80:81], v[22:23]
	v_mul_f64 v[68:69], v[80:81], v[20:21]
	v_fma_f64 v[64:65], v[70:71], v[12:13], v[64:65]
	v_fma_f64 v[66:67], v[70:71], v[14:15], -v[66:67]
	ds_read_b128 v[12:15], v156 offset:7744
	s_clause 0x3
	buffer_load_dword v88, off, s[40:43], 0 offset:488
	buffer_load_dword v89, off, s[40:43], 0 offset:492
	;; [unrolled: 1-line block ×4, first 2 shown]
	v_fma_f64 v[74:75], v[78:79], v[20:21], v[32:33]
	ds_read_b128 v[32:35], v156 offset:11264
	v_fma_f64 v[68:69], v[78:79], v[22:23], -v[68:69]
	s_waitcnt vmcnt(0) lgkmcnt(2)
	v_mul_f64 v[70:71], v[90:91], v[38:39]
	v_mul_f64 v[72:73], v[90:91], v[36:37]
	s_clause 0x3
	buffer_load_dword v90, off, s[40:43], 0 offset:568
	buffer_load_dword v91, off, s[40:43], 0 offset:572
	;; [unrolled: 1-line block ×4, first 2 shown]
	ds_read_b128 v[20:23], v156 offset:11968
	s_clause 0x7
	buffer_load_dword v94, off, s[40:43], 0 offset:584
	buffer_load_dword v95, off, s[40:43], 0 offset:588
	;; [unrolled: 1-line block ×8, first 2 shown]
	v_fma_f64 v[36:37], v[88:89], v[36:37], v[70:71]
	v_fma_f64 v[38:39], v[88:89], v[38:39], -v[72:73]
	v_add_f64 v[88:89], v[52:53], v[48:49]
	v_add_f64 v[48:49], v[52:53], -v[48:49]
	v_add_f64 v[52:53], v[56:57], -v[60:61]
	;; [unrolled: 1-line block ×3, first 2 shown]
	s_waitcnt vmcnt(8)
	v_mul_f64 v[78:79], v[92:93], v[18:19]
	v_mul_f64 v[80:81], v[92:93], v[16:17]
	s_waitcnt vmcnt(4) lgkmcnt(1)
	v_mul_f64 v[70:71], v[96:97], v[34:35]
	v_mul_f64 v[72:73], v[96:97], v[32:33]
	v_add_f64 v[92:93], v[54:55], v[50:51]
	v_add_f64 v[50:51], v[54:55], -v[50:51]
	s_waitcnt lgkmcnt(0)
	v_mul_f64 v[54:55], v[154:155], v[22:23]
	v_mul_f64 v[96:97], v[162:163], v[24:25]
	v_fma_f64 v[78:79], v[90:91], v[16:17], v[78:79]
	v_fma_f64 v[80:81], v[90:91], v[18:19], -v[80:81]
	s_waitcnt vmcnt(0)
	v_mul_f64 v[16:17], v[100:101], v[30:31]
	v_mul_f64 v[18:19], v[100:101], v[28:29]
	v_add_f64 v[90:91], v[46:47], v[42:43]
	v_fma_f64 v[32:33], v[94:95], v[32:33], v[70:71]
	v_fma_f64 v[34:35], v[94:95], v[34:35], -v[72:73]
	v_mul_f64 v[70:71], v[162:163], v[26:27]
	v_add_f64 v[72:73], v[60:61], v[56:57]
	v_add_f64 v[94:95], v[88:89], v[82:83]
	v_mul_f64 v[100:101], v[122:123], v[10:11]
	v_mul_f64 v[56:57], v[154:155], v[20:21]
	v_add_f64 v[42:43], v[46:47], -v[42:43]
	v_fma_f64 v[54:55], v[152:153], v[20:21], v[54:55]
	v_fma_f64 v[26:27], v[160:161], v[26:27], -v[96:97]
	v_fma_f64 v[28:29], v[98:99], v[28:29], v[16:17]
	v_fma_f64 v[30:31], v[98:99], v[30:31], -v[18:19]
	v_add_f64 v[98:99], v[62:63], v[58:59]
	v_add_f64 v[16:17], v[92:93], v[90:91]
	v_add_f64 v[58:59], v[58:59], -v[62:63]
	v_fma_f64 v[24:25], v[160:161], v[24:25], v[70:71]
	v_add_f64 v[60:61], v[82:83], -v[72:73]
	v_add_f64 v[44:45], v[72:73], v[94:95]
	v_fma_f64 v[70:71], v[120:121], v[8:9], v[100:101]
	v_fma_f64 v[94:95], v[120:121], v[10:11], -v[102:103]
	ds_read_b128 v[8:11], v156 offset:14080
	v_fma_f64 v[56:57], v[152:153], v[22:23], -v[56:57]
	v_add_f64 v[72:73], v[72:73], -v[88:89]
	v_add_f64 v[100:101], v[52:53], v[48:49]
	v_add_f64 v[82:83], v[88:89], -v[82:83]
	v_add_f64 v[88:89], v[92:93], -v[90:91]
	;; [unrolled: 1-line block ×4, first 2 shown]
	v_add_f64 v[114:115], v[74:75], v[32:33]
	v_add_f64 v[116:117], v[68:69], v[34:35]
	v_add_f64 v[32:33], v[74:75], -v[32:33]
	v_add_f64 v[34:35], v[68:69], -v[34:35]
	v_add_f64 v[110:111], v[64:65], v[28:29]
	v_add_f64 v[112:113], v[66:67], v[30:31]
	v_add_f64 v[62:63], v[90:91], -v[98:99]
	v_add_f64 v[46:47], v[98:99], v[16:17]
	ds_read_b128 v[16:19], v156
	s_clause 0x3
	buffer_load_dword v122, off, s[40:43], 0 offset:632
	buffer_load_dword v123, off, s[40:43], 0 offset:636
	;; [unrolled: 1-line block ×4, first 2 shown]
	ds_read_b128 v[20:23], v156 offset:704
	s_clause 0x3
	buffer_load_dword v118, off, s[40:43], 0 offset:616
	buffer_load_dword v119, off, s[40:43], 0 offset:620
	;; [unrolled: 1-line block ×4, first 2 shown]
	v_add_f64 v[98:99], v[98:99], -v[92:93]
	v_add_f64 v[102:103], v[58:59], v[50:51]
	v_add_f64 v[104:105], v[58:59], -v[50:51]
	v_add_f64 v[50:51], v[50:51], -v[42:43]
	v_mul_f64 v[60:61], v[60:61], s[26:27]
	v_mul_f64 v[90:91], v[72:73], s[4:5]
	v_add_f64 v[58:59], v[42:43], -v[58:59]
	v_add_f64 v[40:41], v[100:101], v[40:41]
	s_waitcnt lgkmcnt(2)
	v_mul_f64 v[108:109], v[150:151], v[8:9]
	v_add_f64 v[28:29], v[64:65], -v[28:29]
	v_add_f64 v[30:31], v[66:67], -v[30:31]
	s_waitcnt vmcnt(0) lgkmcnt(0)
	s_barrier
	buffer_gl0_inv
	v_add_f64 v[16:17], v[16:17], v[44:45]
	v_add_f64 v[18:19], v[18:19], v[46:47]
	v_mul_f64 v[62:63], v[62:63], s[26:27]
	v_mul_f64 v[92:93], v[98:99], s[4:5]
	v_add_f64 v[42:43], v[102:103], v[42:43]
	v_mul_f64 v[100:101], v[104:105], s[22:23]
	v_mul_f64 v[102:103], v[106:107], s[22:23]
	;; [unrolled: 1-line block ×4, first 2 shown]
	v_fma_f64 v[72:73], v[72:73], s[4:5], v[60:61]
	v_fma_f64 v[60:61], v[82:83], s[14:15], -v[60:61]
	v_fma_f64 v[82:83], v[82:83], s[18:19], -v[90:91]
	v_mul_f64 v[90:91], v[48:49], s[2:3]
	v_fma_f64 v[108:109], v[148:149], v[10:11], -v[108:109]
	v_fma_f64 v[44:45], v[44:45], s[20:21], v[16:17]
	v_fma_f64 v[46:47], v[46:47], s[20:21], v[18:19]
	;; [unrolled: 1-line block ×3, first 2 shown]
	v_fma_f64 v[62:63], v[88:89], s[14:15], -v[62:63]
	v_fma_f64 v[88:89], v[88:89], s[18:19], -v[92:93]
	;; [unrolled: 1-line block ×4, first 2 shown]
	v_fma_f64 v[10:11], v[52:53], s[16:17], v[102:103]
	v_fma_f64 v[106:107], v[148:149], v[8:9], v[106:107]
	;; [unrolled: 1-line block ×3, first 2 shown]
	v_fma_f64 v[58:59], v[58:59], s[24:25], -v[104:105]
	v_add_f64 v[102:103], v[36:37], v[78:79]
	v_fma_f64 v[52:53], v[52:53], s[24:25], -v[90:91]
	v_add_f64 v[36:37], v[78:79], -v[36:37]
	v_add_f64 v[74:75], v[26:27], v[108:109]
	v_add_f64 v[78:79], v[70:71], v[54:55]
	;; [unrolled: 1-line block ×3, first 2 shown]
	v_add_f64 v[54:55], v[70:71], -v[54:55]
	v_add_f64 v[72:73], v[72:73], v[44:45]
	v_add_f64 v[82:83], v[82:83], v[44:45]
	;; [unrolled: 1-line block ×6, first 2 shown]
	v_fma_f64 v[50:51], v[42:43], s[12:13], v[50:51]
	v_fma_f64 v[48:49], v[40:41], s[12:13], v[48:49]
	;; [unrolled: 1-line block ×3, first 2 shown]
	v_add_f64 v[68:69], v[24:25], v[106:107]
	v_fma_f64 v[60:61], v[42:43], s[12:13], v[8:9]
	v_fma_f64 v[42:43], v[42:43], s[12:13], v[58:59]
	v_add_f64 v[24:25], v[24:25], -v[106:107]
	v_fma_f64 v[40:41], v[40:41], s[12:13], v[52:53]
	v_add_f64 v[8:9], v[50:51], v[82:83]
	v_add_f64 v[10:11], v[88:89], -v[48:49]
	v_mul_f64 v[96:97], v[124:125], v[14:15]
	v_mul_f64 v[92:93], v[124:125], v[12:13]
	;; [unrolled: 1-line block ×4, first 2 shown]
	v_fma_f64 v[96:97], v[122:123], v[12:13], v[96:97]
	v_fma_f64 v[12:13], v[122:123], v[14:15], -v[92:93]
	v_add_f64 v[14:15], v[38:39], v[80:81]
	v_add_f64 v[92:93], v[114:115], v[110:111]
	v_add_f64 v[38:39], v[80:81], -v[38:39]
	v_fma_f64 v[52:53], v[118:119], v[4:5], v[90:91]
	v_fma_f64 v[58:59], v[118:119], v[6:7], -v[100:101]
	v_add_f64 v[80:81], v[94:95], v[56:57]
	v_add_f64 v[4:5], v[82:83], -v[50:51]
	v_add_f64 v[6:7], v[48:49], v[88:89]
	v_add_f64 v[48:49], v[110:111], -v[102:103]
	v_add_f64 v[50:51], v[102:103], -v[114:115]
	;; [unrolled: 1-line block ×4, first 2 shown]
	v_add_f64 v[100:101], v[36:37], v[32:33]
	v_add_f64 v[56:57], v[94:95], -v[56:57]
	v_add_f64 v[122:123], v[54:55], -v[24:25]
	;; [unrolled: 1-line block ×3, first 2 shown]
	v_add_f64 v[64:65], v[102:103], v[92:93]
	v_add_f64 v[92:93], v[14:15], -v[116:117]
	v_add_f64 v[102:103], v[38:39], v[34:35]
	v_add_f64 v[110:111], v[38:39], -v[34:35]
	v_add_f64 v[112:113], v[96:97], v[52:53]
	v_add_f64 v[114:115], v[12:13], v[58:59]
	;; [unrolled: 1-line block ×5, first 2 shown]
	v_add_f64 v[104:105], v[36:37], -v[32:33]
	v_add_f64 v[32:33], v[32:33], -v[28:29]
	;; [unrolled: 1-line block ×7, first 2 shown]
	v_add_f64 v[28:29], v[100:101], v[28:29]
	v_mul_f64 v[70:71], v[90:91], s[26:27]
	v_add_f64 v[12:13], v[20:21], v[64:65]
	v_add_f64 v[20:21], v[26:27], -v[108:109]
	v_mul_f64 v[26:27], v[48:49], s[26:27]
	v_mul_f64 v[48:49], v[50:51], s[4:5]
	v_add_f64 v[30:31], v[102:103], v[30:31]
	v_mul_f64 v[94:95], v[110:111], s[22:23]
	v_add_f64 v[96:97], v[112:113], v[116:117]
	v_add_f64 v[100:101], v[114:115], v[118:119]
	v_add_f64 v[102:103], v[68:69], -v[112:113]
	v_add_f64 v[108:109], v[74:75], -v[114:115]
	;; [unrolled: 1-line block ×4, first 2 shown]
	v_mul_f64 v[90:91], v[92:93], s[4:5]
	v_add_f64 v[14:15], v[22:23], v[66:67]
	v_mul_f64 v[22:23], v[104:105], s[22:23]
	v_mul_f64 v[114:115], v[32:33], s[2:3]
	;; [unrolled: 1-line block ×3, first 2 shown]
	v_add_f64 v[118:119], v[58:59], -v[56:57]
	v_add_f64 v[74:75], v[80:81], -v[74:75]
	;; [unrolled: 1-line block ×3, first 2 shown]
	v_fma_f64 v[92:93], v[92:93], s[4:5], v[70:71]
	v_fma_f64 v[64:65], v[64:65], s[20:21], v[12:13]
	v_add_f64 v[120:121], v[56:57], -v[20:21]
	v_fma_f64 v[50:51], v[50:51], s[4:5], v[26:27]
	v_fma_f64 v[48:49], v[82:83], s[18:19], -v[48:49]
	v_fma_f64 v[82:83], v[82:83], s[14:15], -v[26:27]
	;; [unrolled: 1-line block ×3, first 2 shown]
	v_add_f64 v[26:27], v[52:53], -v[54:55]
	v_add_f64 v[106:107], v[2:3], v[100:101]
	v_fma_f64 v[70:71], v[88:89], s[14:15], -v[70:71]
	v_mul_f64 v[2:3], v[108:109], s[26:27]
	v_add_f64 v[54:55], v[52:53], v[54:55]
	v_mul_f64 v[80:81], v[112:113], s[4:5]
	v_fma_f64 v[90:91], v[88:89], s[18:19], -v[90:91]
	v_add_f64 v[56:57], v[58:59], v[56:57]
	v_add_f64 v[104:105], v[0:1], v[96:97]
	v_mul_f64 v[0:1], v[102:103], s[26:27]
	v_mul_f64 v[78:79], v[110:111], s[4:5]
	v_add_f64 v[52:53], v[24:25], -v[52:53]
	v_add_f64 v[58:59], v[20:21], -v[58:59]
	v_mul_f64 v[88:89], v[118:119], s[22:23]
	v_fma_f64 v[32:33], v[32:33], s[2:3], -v[22:23]
	v_fma_f64 v[102:103], v[36:37], s[16:17], v[22:23]
	v_fma_f64 v[36:37], v[36:37], s[24:25], -v[114:115]
	v_mul_f64 v[108:109], v[120:121], s[2:3]
	v_mul_f64 v[114:115], v[122:123], s[2:3]
	v_fma_f64 v[66:67], v[66:67], s[20:21], v[14:15]
	v_fma_f64 v[94:95], v[38:39], s[16:17], v[94:95]
	v_add_f64 v[50:51], v[50:51], v[64:65]
	v_add_f64 v[48:49], v[48:49], v[64:65]
	v_fma_f64 v[100:101], v[100:101], s[20:21], v[106:107]
	v_add_f64 v[64:65], v[82:83], v[64:65]
	v_fma_f64 v[112:113], v[112:113], s[4:5], v[2:3]
	v_fma_f64 v[82:83], v[30:31], s[12:13], v[34:35]
	v_fma_f64 v[80:81], v[74:75], s[18:19], -v[80:81]
	v_fma_f64 v[38:39], v[38:39], s[24:25], -v[116:117]
	v_add_f64 v[54:55], v[54:55], v[24:25]
	v_fma_f64 v[2:3], v[74:75], s[14:15], -v[2:3]
	v_fma_f64 v[110:111], v[110:111], s[4:5], v[0:1]
	v_fma_f64 v[78:79], v[68:69], s[18:19], -v[78:79]
	v_fma_f64 v[0:1], v[68:69], s[14:15], -v[0:1]
	v_add_f64 v[24:25], v[42:43], v[44:45]
	v_add_f64 v[56:57], v[56:57], v[20:21]
	v_fma_f64 v[116:117], v[28:29], s[12:13], v[32:33]
	v_add_f64 v[20:21], v[60:61], v[72:73]
	v_add_f64 v[22:23], v[98:99], -v[62:63]
	v_fma_f64 v[68:69], v[58:59], s[24:25], -v[108:109]
	v_fma_f64 v[58:59], v[58:59], s[16:17], v[88:89]
	v_fma_f64 v[74:75], v[52:53], s[24:25], -v[114:115]
	v_add_f64 v[92:93], v[92:93], v[66:67]
	v_fma_f64 v[88:89], v[120:121], s[2:3], -v[88:89]
	v_add_f64 v[90:91], v[90:91], v[66:67]
	v_add_f64 v[66:67], v[70:71], v[66:67]
	v_fma_f64 v[70:71], v[30:31], s[12:13], v[94:95]
	v_fma_f64 v[94:95], v[28:29], s[12:13], v[102:103]
	;; [unrolled: 1-line block ×3, first 2 shown]
	v_add_f64 v[120:121], v[112:113], v[100:101]
	v_add_f64 v[112:113], v[80:81], v[100:101]
	v_add_f64 v[28:29], v[44:45], -v[42:43]
	v_add_f64 v[44:45], v[48:49], -v[82:83]
	v_add_f64 v[80:81], v[82:83], v[48:49]
	buffer_load_dword v48, off, s[40:43], 0 offset:676 ; 4-byte Folded Reload
	v_mul_f64 v[118:119], v[26:27], s[22:23]
	v_add_f64 v[26:27], v[46:47], -v[40:41]
	v_fma_f64 v[102:103], v[30:31], s[12:13], v[38:39]
	v_add_f64 v[30:31], v[40:41], v[46:47]
	v_add_f64 v[32:33], v[72:73], -v[60:61]
	v_add_f64 v[34:35], v[62:63], v[98:99]
	v_fma_f64 v[96:97], v[96:97], s[20:21], v[104:105]
	v_add_f64 v[124:125], v[2:3], v[100:101]
	v_fma_f64 v[74:75], v[54:55], s[12:13], v[74:75]
	v_fma_f64 v[58:59], v[56:57], s[12:13], v[58:59]
	;; [unrolled: 1-line block ×3, first 2 shown]
	v_add_f64 v[46:47], v[116:117], v[90:91]
	v_add_f64 v[82:83], v[90:91], -v[116:117]
	v_add_f64 v[36:37], v[70:71], v[50:51]
	v_add_f64 v[38:39], v[92:93], -v[94:95]
	v_add_f64 v[42:43], v[66:67], -v[114:115]
	v_add_f64 v[2:3], v[94:95], v[92:93]
	v_fma_f64 v[56:57], v[56:57], s[12:13], v[88:89]
	s_waitcnt vmcnt(0)
	ds_write_b128 v48, v[16:19]
	ds_write_b128 v48, v[20:23] offset:192
	ds_write_b128 v48, v[24:27] offset:384
	;; [unrolled: 1-line block ×6, first 2 shown]
	buffer_load_dword v4, off, s[40:43], 0 offset:680 ; 4-byte Folded Reload
	v_fma_f64 v[52:53], v[52:53], s[16:17], v[118:119]
	v_fma_f64 v[108:109], v[122:123], s[2:3], -v[118:119]
	v_add_f64 v[40:41], v[102:103], v[64:65]
	v_add_f64 v[118:119], v[110:111], v[96:97]
	v_add_f64 v[110:111], v[114:115], v[66:67]
	v_add_f64 v[122:123], v[0:1], v[96:97]
	v_add_f64 v[0:1], v[50:51], -v[70:71]
	v_add_f64 v[78:79], v[78:79], v[96:97]
	v_add_f64 v[90:91], v[124:125], -v[74:75]
	v_add_f64 v[114:115], v[74:75], v[124:125]
	v_fma_f64 v[52:53], v[54:55], s[12:13], v[52:53]
	v_fma_f64 v[54:55], v[54:55], s[12:13], v[108:109]
	v_add_f64 v[108:109], v[64:65], -v[102:103]
	v_add_f64 v[92:93], v[58:59], v[118:119]
	v_add_f64 v[116:117], v[118:119], -v[58:59]
	v_add_f64 v[88:89], v[68:69], v[122:123]
	s_waitcnt vmcnt(0)
	ds_write_b128 v4, v[12:15]
	ds_write_b128 v4, v[36:39] offset:192
	ds_write_b128 v4, v[40:43] offset:384
	;; [unrolled: 1-line block ×6, first 2 shown]
	buffer_load_dword v4, off, s[40:43], 0 offset:684 ; 4-byte Folded Reload
	v_add_f64 v[94:95], v[120:121], -v[52:53]
	v_add_f64 v[96:97], v[78:79], -v[56:57]
	v_add_f64 v[98:99], v[54:55], v[112:113]
	v_add_f64 v[100:101], v[56:57], v[78:79]
	v_add_f64 v[102:103], v[112:113], -v[54:55]
	v_add_f64 v[112:113], v[122:123], -v[68:69]
	v_add_f64 v[118:119], v[52:53], v[120:121]
	s_waitcnt vmcnt(0)
	ds_write_b128 v4, v[104:107]
	ds_write_b128 v4, v[92:95] offset:192
	ds_write_b128 v4, v[88:91] offset:384
	;; [unrolled: 1-line block ×6, first 2 shown]
	s_waitcnt lgkmcnt(0)
	s_barrier
	buffer_gl0_inv
	ds_read_b128 v[4:7], v156
	ds_read_b128 v[28:31], v156 offset:1344
	ds_read_b128 v[132:135], v156 offset:2688
	;; [unrolled: 1-line block ×10, first 2 shown]
	s_and_saveexec_b32 s1, s0
	s_cbranch_execz .LBB0_27
; %bb.26:
	ds_read_b128 v[80:83], v156 offset:704
	ds_read_b128 v[108:111], v156 offset:2048
	;; [unrolled: 1-line block ×11, first 2 shown]
.LBB0_27:
	s_or_b32 exec_lo, exec_lo, s1
	s_waitcnt lgkmcnt(9)
	v_mul_f64 v[32:33], v[206:207], v[30:31]
	v_mul_f64 v[34:35], v[206:207], v[28:29]
	s_waitcnt lgkmcnt(8)
	v_mul_f64 v[36:37], v[238:239], v[134:135]
	v_mul_f64 v[38:39], v[238:239], v[132:133]
	;; [unrolled: 3-line block ×3, first 2 shown]
	v_mul_f64 v[42:43], v[214:215], v[24:25]
	v_mul_f64 v[46:47], v[210:211], v[120:121]
	v_mul_f64 v[58:59], v[230:231], v[12:13]
	v_mul_f64 v[64:65], v[242:243], v[20:21]
	v_mul_f64 v[44:45], v[210:211], v[122:123]
	v_mul_f64 v[52:53], v[222:223], v[10:11]
	v_mul_f64 v[54:55], v[222:223], v[8:9]
	v_mul_f64 v[62:63], v[242:243], v[22:23]
	v_mul_f64 v[68:69], v[234:235], v[124:125]
	v_mul_f64 v[48:49], v[226:227], v[18:19]
	v_mul_f64 v[50:51], v[226:227], v[16:17]
	v_mul_f64 v[56:57], v[230:231], v[14:15]
	v_mul_f64 v[66:67], v[234:235], v[126:127]
	s_mov_b32 s34, 0xf8bb580b
	s_mov_b32 s35, 0xbfe14ced
	;; [unrolled: 1-line block ×3, first 2 shown]
	v_fma_f64 v[32:33], v[204:205], v[28:29], v[32:33]
	v_fma_f64 v[34:35], v[204:205], v[30:31], -v[34:35]
	v_fma_f64 v[36:37], v[236:237], v[132:133], v[36:37]
	v_fma_f64 v[38:39], v[236:237], v[134:135], -v[38:39]
	v_fma_f64 v[28:29], v[216:217], v[130:131], -v[60:61]
	v_fma_f64 v[24:25], v[212:213], v[24:25], v[40:41]
	v_fma_f64 v[26:27], v[212:213], v[26:27], -v[42:43]
	v_fma_f64 v[42:43], v[208:209], v[122:123], -v[46:47]
	;; [unrolled: 1-line block ×4, first 2 shown]
	v_mul_f64 v[30:31], v[218:219], v[130:131]
	v_fma_f64 v[44:45], v[208:209], v[120:121], v[44:45]
	v_fma_f64 v[8:9], v[220:221], v[8:9], v[52:53]
	v_fma_f64 v[10:11], v[220:221], v[10:11], -v[54:55]
	v_fma_f64 v[68:69], v[232:233], v[126:127], -v[68:69]
	v_fma_f64 v[20:21], v[240:241], v[20:21], v[62:63]
	v_fma_f64 v[14:15], v[224:225], v[16:17], v[48:49]
	v_fma_f64 v[16:17], v[224:225], v[18:19], -v[50:51]
	v_fma_f64 v[12:13], v[228:229], v[12:13], v[56:57]
	v_fma_f64 v[66:67], v[232:233], v[124:125], v[66:67]
	s_mov_b32 s30, 0x8eee2c13
	s_mov_b32 s14, 0xd9c712b6
	v_add_f64 v[70:71], v[4:5], v[32:33]
	v_add_f64 v[60:61], v[6:7], v[34:35]
	s_mov_b32 s22, 0x43842ef
	s_mov_b32 s12, 0x640f44db
	v_add_f64 v[40:41], v[34:35], -v[28:29]
	v_add_f64 v[34:35], v[34:35], v[28:29]
	s_mov_b32 s26, 0xbb3a28a1
	s_mov_b32 s16, 0x7f775887
	v_add_f64 v[56:57], v[42:43], v[46:47]
	v_add_f64 v[52:53], v[26:27], -v[22:23]
	v_add_f64 v[54:55], v[26:27], v[22:23]
	v_fma_f64 v[30:31], v[216:217], v[128:129], v[30:31]
	v_add_f64 v[62:63], v[42:43], -v[46:47]
	s_mov_b32 s28, 0xfd768dbf
	v_add_f64 v[18:19], v[38:39], -v[68:69]
	s_mov_b32 s18, 0x9bcd5057
	s_mov_b32 s3, 0x3feaeb8c
	;; [unrolled: 1-line block ×8, first 2 shown]
	v_add_f64 v[58:59], v[60:61], v[38:39]
	v_add_f64 v[60:61], v[70:71], v[36:37]
	s_mov_b32 s29, 0xbfd207e7
	v_mul_f64 v[64:65], v[40:41], s[34:35]
	s_mov_b32 s19, 0xbfeeb42a
	v_add_f64 v[38:39], v[38:39], v[68:69]
	v_mul_f64 v[70:71], v[34:35], s[2:3]
	v_mul_f64 v[72:73], v[34:35], s[14:15]
	;; [unrolled: 1-line block ×4, first 2 shown]
	v_add_f64 v[48:49], v[32:33], v[30:31]
	v_add_f64 v[32:33], v[32:33], -v[30:31]
	v_mul_f64 v[120:121], v[40:41], s[26:27]
	v_mul_f64 v[122:123], v[34:35], s[16:17]
	;; [unrolled: 1-line block ×3, first 2 shown]
	v_add_f64 v[50:51], v[36:37], v[66:67]
	v_mul_f64 v[124:125], v[18:19], s[30:31]
	s_mov_b32 s5, 0x3fe14ced
	s_mov_b32 s21, 0x3fed1bb4
	;; [unrolled: 1-line block ×5, first 2 shown]
	v_add_f64 v[26:27], v[58:59], v[26:27]
	v_add_f64 v[58:59], v[60:61], v[24:25]
	v_mul_f64 v[60:61], v[40:41], s[30:31]
	v_mul_f64 v[40:41], v[40:41], s[28:29]
	s_mov_b32 s4, s34
	s_mov_b32 s20, s30
	;; [unrolled: 1-line block ×5, first 2 shown]
	v_add_f64 v[36:37], v[36:37], -v[66:67]
	v_fma_f64 v[140:141], v[48:49], s[2:3], v[64:65]
	v_mul_f64 v[126:127], v[38:39], s[14:15]
	v_mul_f64 v[128:129], v[18:19], s[26:27]
	v_mul_f64 v[130:131], v[38:39], s[16:17]
	v_mul_f64 v[132:133], v[18:19], s[36:37]
	v_mul_f64 v[134:135], v[38:39], s[18:19]
	v_mul_f64 v[136:137], v[18:19], s[24:25]
	v_mul_f64 v[138:139], v[38:39], s[12:13]
	v_mul_f64 v[18:19], v[18:19], s[4:5]
	v_mul_f64 v[38:39], v[38:39], s[2:3]
	v_fma_f64 v[142:143], v[32:33], s[4:5], v[70:71]
	v_fma_f64 v[144:145], v[32:33], s[20:21], v[72:73]
	v_add_f64 v[26:27], v[26:27], v[42:43]
	v_add_f64 v[42:43], v[58:59], v[44:45]
	v_fma_f64 v[58:59], v[48:49], s[2:3], -v[64:65]
	v_fma_f64 v[64:65], v[32:33], s[34:35], v[70:71]
	v_fma_f64 v[70:71], v[48:49], s[14:15], v[60:61]
	v_fma_f64 v[60:61], v[48:49], s[14:15], -v[60:61]
	v_fma_f64 v[72:73], v[32:33], s[30:31], v[72:73]
	v_fma_f64 v[146:147], v[48:49], s[12:13], v[74:75]
	v_fma_f64 v[148:149], v[32:33], s[24:25], v[78:79]
	v_fma_f64 v[74:75], v[48:49], s[12:13], -v[74:75]
	v_fma_f64 v[78:79], v[32:33], s[22:23], v[78:79]
	;; [unrolled: 4-line block ×4, first 2 shown]
	v_fma_f64 v[34:35], v[50:51], s[14:15], v[124:125]
	v_add_f64 v[140:141], v[4:5], v[140:141]
	v_fma_f64 v[48:49], v[36:37], s[20:21], v[126:127]
	v_add_f64 v[26:27], v[26:27], v[16:17]
	v_add_f64 v[42:43], v[42:43], v[14:15]
	v_fma_f64 v[124:125], v[50:51], s[14:15], -v[124:125]
	v_fma_f64 v[126:127], v[36:37], s[30:31], v[126:127]
	v_fma_f64 v[159:160], v[50:51], s[16:17], v[128:129]
	;; [unrolled: 1-line block ×3, first 2 shown]
	v_fma_f64 v[128:129], v[50:51], s[16:17], -v[128:129]
	v_fma_f64 v[130:131], v[36:37], s[26:27], v[130:131]
	v_fma_f64 v[163:164], v[50:51], s[18:19], v[132:133]
	v_fma_f64 v[132:133], v[50:51], s[18:19], -v[132:133]
	v_fma_f64 v[165:166], v[50:51], s[12:13], v[136:137]
	v_fma_f64 v[136:137], v[50:51], s[12:13], -v[136:137]
	;; [unrolled: 2-line block ×3, first 2 shown]
	v_fma_f64 v[50:51], v[36:37], s[28:29], v[134:135]
	v_fma_f64 v[134:135], v[36:37], s[36:37], v[134:135]
	v_add_f64 v[142:143], v[6:7], v[142:143]
	v_add_f64 v[58:59], v[4:5], v[58:59]
	;; [unrolled: 1-line block ×21, first 2 shown]
	v_fma_f64 v[32:33], v[36:37], s[22:23], v[138:139]
	v_fma_f64 v[40:41], v[36:37], s[24:25], v[138:139]
	;; [unrolled: 1-line block ×4, first 2 shown]
	v_add_f64 v[38:39], v[24:25], v[20:21]
	v_add_f64 v[34:35], v[34:35], v[140:141]
	v_add_f64 v[24:25], v[24:25], -v[20:21]
	v_add_f64 v[26:27], v[26:27], v[46:47]
	v_add_f64 v[42:43], v[42:43], v[12:13]
	v_mul_f64 v[46:47], v[52:53], s[22:23]
	v_mul_f64 v[140:141], v[54:55], s[12:13]
	v_add_f64 v[48:49], v[48:49], v[142:143]
	v_mul_f64 v[142:143], v[52:53], s[36:37]
	v_add_f64 v[58:59], v[124:125], v[58:59]
	;; [unrolled: 2-line block ×7, first 2 shown]
	v_add_f64 v[146:147], v[163:164], v[146:147]
	v_add_f64 v[4:5], v[18:19], v[4:5]
	;; [unrolled: 1-line block ×7, first 2 shown]
	v_fma_f64 v[42:43], v[38:39], s[12:13], v[46:47]
	v_fma_f64 v[26:27], v[24:25], s[24:25], v[140:141]
	v_fma_f64 v[46:47], v[38:39], s[12:13], -v[46:47]
	v_fma_f64 v[140:141], v[24:25], s[22:23], v[140:141]
	v_fma_f64 v[130:131], v[38:39], s[18:19], v[142:143]
	;; [unrolled: 1-line block ×4, first 2 shown]
	v_add_f64 v[6:7], v[36:37], v[6:7]
	v_mul_f64 v[36:37], v[52:53], s[26:27]
	v_fma_f64 v[52:53], v[24:25], s[20:21], v[159:160]
	v_fma_f64 v[148:149], v[38:39], s[14:15], v[126:127]
	v_add_f64 v[132:133], v[165:166], v[150:151]
	v_add_f64 v[32:33], v[32:33], v[152:153]
	;; [unrolled: 1-line block ×5, first 2 shown]
	v_mul_f64 v[136:137], v[56:57], s[12:13]
	v_fma_f64 v[138:139], v[38:39], s[2:3], -v[161:162]
	v_fma_f64 v[142:143], v[38:39], s[18:19], -v[142:143]
	v_add_f64 v[122:123], v[167:168], v[154:155]
	v_add_f64 v[22:23], v[22:23], v[68:69]
	v_add_f64 v[20:21], v[20:21], v[66:67]
	v_add_f64 v[18:19], v[42:43], v[34:35]
	v_mul_f64 v[42:43], v[54:55], s[16:17]
	v_add_f64 v[54:55], v[44:45], v[12:13]
	v_add_f64 v[12:13], v[44:45], -v[12:13]
	v_mul_f64 v[66:67], v[56:57], s[16:17]
	v_add_f64 v[26:27], v[26:27], v[48:49]
	v_fma_f64 v[48:49], v[38:39], s[14:15], -v[126:127]
	v_fma_f64 v[34:35], v[24:25], s[30:31], v[159:160]
	v_mul_f64 v[44:45], v[62:63], s[26:27]
	v_fma_f64 v[68:69], v[38:39], s[2:3], v[161:162]
	v_fma_f64 v[126:127], v[24:25], s[4:5], v[128:129]
	v_add_f64 v[46:47], v[46:47], v[58:59]
	v_add_f64 v[58:59], v[140:141], v[64:65]
	;; [unrolled: 1-line block ×3, first 2 shown]
	v_mul_f64 v[130:131], v[62:63], s[24:25]
	v_add_f64 v[72:73], v[124:125], v[72:73]
	v_fma_f64 v[124:125], v[24:25], s[34:35], v[128:129]
	v_add_f64 v[52:53], v[52:53], v[78:79]
	v_mul_f64 v[78:79], v[56:57], s[2:3]
	v_add_f64 v[70:71], v[163:164], v[144:145]
	v_add_f64 v[120:121], v[138:139], v[120:121]
	v_mul_f64 v[138:139], v[56:57], s[18:19]
	v_mul_f64 v[56:57], v[56:57], s[14:15]
	v_fma_f64 v[140:141], v[24:25], s[38:39], v[42:43]
	v_fma_f64 v[24:25], v[24:25], s[26:27], v[42:43]
	v_add_f64 v[60:61], v[142:143], v[60:61]
	v_fma_f64 v[42:43], v[12:13], s[38:39], v[66:67]
	v_fma_f64 v[66:67], v[12:13], s[26:27], v[66:67]
	v_add_f64 v[48:49], v[48:49], v[74:75]
	v_mul_f64 v[74:75], v[62:63], s[34:35]
	v_add_f64 v[34:35], v[34:35], v[50:51]
	v_fma_f64 v[50:51], v[38:39], s[16:17], v[36:37]
	v_fma_f64 v[36:37], v[38:39], s[16:17], -v[36:37]
	v_fma_f64 v[38:39], v[54:55], s[16:17], v[44:45]
	v_fma_f64 v[44:45], v[54:55], s[16:17], -v[44:45]
	v_add_f64 v[68:69], v[68:69], v[132:133]
	v_add_f64 v[32:33], v[126:127], v[32:33]
	v_fma_f64 v[126:127], v[54:55], s[12:13], v[130:131]
	v_fma_f64 v[132:133], v[12:13], s[22:23], v[136:137]
	;; [unrolled: 1-line block ×3, first 2 shown]
	v_add_f64 v[40:41], v[124:125], v[40:41]
	v_mul_f64 v[124:125], v[62:63], s[28:29]
	v_mul_f64 v[62:63], v[62:63], s[20:21]
	v_add_f64 v[128:129], v[148:149], v[146:147]
	v_fma_f64 v[130:131], v[54:55], s[12:13], -v[130:131]
	v_add_f64 v[6:7], v[24:25], v[6:7]
	v_add_f64 v[24:25], v[42:43], v[26:27]
	v_add_f64 v[26:27], v[16:17], -v[10:11]
	v_add_f64 v[10:11], v[16:17], v[10:11]
	v_fma_f64 v[16:17], v[54:55], s[2:3], v[74:75]
	v_add_f64 v[58:59], v[66:67], v[58:59]
	v_fma_f64 v[66:67], v[12:13], s[34:35], v[78:79]
	v_add_f64 v[4:5], v[36:37], v[4:5]
	v_add_f64 v[18:19], v[38:39], v[18:19]
	v_fma_f64 v[38:39], v[12:13], s[4:5], v[78:79]
	v_add_f64 v[36:37], v[44:45], v[46:47]
	v_fma_f64 v[46:47], v[54:55], s[2:3], -v[74:75]
	v_add_f64 v[42:43], v[126:127], v[64:65]
	v_add_f64 v[44:45], v[132:133], v[70:71]
	;; [unrolled: 1-line block ×3, first 2 shown]
	v_fma_f64 v[72:73], v[12:13], s[36:37], v[138:139]
	v_fma_f64 v[70:71], v[54:55], s[18:19], v[124:125]
	v_fma_f64 v[74:75], v[54:55], s[18:19], -v[124:125]
	v_fma_f64 v[78:79], v[12:13], s[28:29], v[138:139]
	v_fma_f64 v[124:125], v[54:55], s[14:15], v[62:63]
	;; [unrolled: 1-line block ×3, first 2 shown]
	v_fma_f64 v[54:55], v[54:55], s[14:15], -v[62:63]
	v_fma_f64 v[12:13], v[12:13], s[20:21], v[56:57]
	v_add_f64 v[56:57], v[14:15], v[8:9]
	v_add_f64 v[8:9], v[14:15], -v[8:9]
	v_mul_f64 v[14:15], v[26:27], s[28:29]
	v_mul_f64 v[62:63], v[10:11], s[18:19]
	v_add_f64 v[60:61], v[130:131], v[60:61]
	v_add_f64 v[128:129], v[16:17], v[128:129]
	v_mul_f64 v[16:17], v[26:27], s[4:5]
	v_mul_f64 v[130:131], v[10:11], s[2:3]
	v_add_f64 v[50:51], v[50:51], v[122:123]
	v_add_f64 v[122:123], v[140:141], v[134:135]
	;; [unrolled: 1-line block ×3, first 2 shown]
	v_mul_f64 v[38:39], v[26:27], s[26:27]
	v_mul_f64 v[132:133], v[10:11], s[16:17]
	v_add_f64 v[46:47], v[46:47], v[48:49]
	v_mul_f64 v[48:49], v[26:27], s[20:21]
	v_mul_f64 v[134:135], v[10:11], s[14:15]
	;; [unrolled: 1-line block ×4, first 2 shown]
	v_add_f64 v[52:53], v[66:67], v[52:53]
	v_add_f64 v[66:67], v[70:71], v[68:69]
	;; [unrolled: 1-line block ×6, first 2 shown]
	v_fma_f64 v[12:13], v[56:57], s[18:19], v[14:15]
	v_fma_f64 v[32:33], v[8:9], s[36:37], v[62:63]
	v_add_f64 v[54:55], v[54:55], v[4:5]
	v_fma_f64 v[14:15], v[56:57], s[18:19], -v[14:15]
	v_fma_f64 v[78:79], v[56:57], s[2:3], v[16:17]
	v_fma_f64 v[120:121], v[8:9], s[34:35], v[130:131]
	v_add_f64 v[40:41], v[124:125], v[50:51]
	v_add_f64 v[50:51], v[126:127], v[122:123]
	v_fma_f64 v[122:123], v[56:57], s[2:3], -v[16:17]
	v_fma_f64 v[124:125], v[56:57], s[16:17], v[38:39]
	v_fma_f64 v[126:127], v[8:9], s[38:39], v[132:133]
	v_fma_f64 v[38:39], v[56:57], s[16:17], -v[38:39]
	v_fma_f64 v[136:137], v[56:57], s[14:15], v[48:49]
	v_fma_f64 v[138:139], v[8:9], s[30:31], v[134:135]
	;; [unrolled: 1-line block ×4, first 2 shown]
	v_fma_f64 v[48:49], v[56:57], s[14:15], -v[48:49]
	v_fma_f64 v[56:57], v[56:57], s[12:13], -v[26:27]
	v_fma_f64 v[144:145], v[8:9], s[22:23], v[10:11]
	v_fma_f64 v[134:135], v[8:9], s[20:21], v[134:135]
	;; [unrolled: 1-line block ×5, first 2 shown]
	v_add_f64 v[4:5], v[20:21], v[30:31]
	v_add_f64 v[6:7], v[22:23], v[28:29]
	;; [unrolled: 1-line block ×22, first 2 shown]
	ds_write_b128 v156, v[4:7]
	ds_write_b128 v156, v[8:11] offset:1344
	ds_write_b128 v156, v[16:19] offset:2688
	;; [unrolled: 1-line block ×10, first 2 shown]
	s_and_saveexec_b32 s1, s0
	s_cbranch_execz .LBB0_29
; %bb.28:
	s_clause 0x17
	buffer_load_dword v28, off, s[40:43], 0 offset:792
	buffer_load_dword v29, off, s[40:43], 0 offset:796
	buffer_load_dword v30, off, s[40:43], 0 offset:800
	buffer_load_dword v31, off, s[40:43], 0 offset:804
	buffer_load_dword v32, off, s[40:43], 0 offset:840
	buffer_load_dword v33, off, s[40:43], 0 offset:844
	buffer_load_dword v34, off, s[40:43], 0 offset:848
	buffer_load_dword v35, off, s[40:43], 0 offset:852
	buffer_load_dword v22, off, s[40:43], 0 offset:760
	buffer_load_dword v23, off, s[40:43], 0 offset:764
	buffer_load_dword v24, off, s[40:43], 0 offset:768
	buffer_load_dword v25, off, s[40:43], 0 offset:772
	buffer_load_dword v48, off, s[40:43], 0 offset:824
	buffer_load_dword v49, off, s[40:43], 0 offset:828
	buffer_load_dword v50, off, s[40:43], 0 offset:832
	buffer_load_dword v51, off, s[40:43], 0 offset:836
	buffer_load_dword v66, off, s[40:43], 0 offset:776
	buffer_load_dword v67, off, s[40:43], 0 offset:780
	buffer_load_dword v68, off, s[40:43], 0 offset:784
	buffer_load_dword v69, off, s[40:43], 0 offset:788
	buffer_load_dword v70, off, s[40:43], 0 offset:808
	buffer_load_dword v71, off, s[40:43], 0 offset:812
	buffer_load_dword v72, off, s[40:43], 0 offset:816
	buffer_load_dword v73, off, s[40:43], 0 offset:820
	s_waitcnt vmcnt(20)
	v_mul_f64 v[4:5], v[30:31], v[110:111]
	s_waitcnt vmcnt(16)
	v_mul_f64 v[6:7], v[34:35], v[86:87]
	v_mul_f64 v[8:9], v[30:31], v[108:109]
	s_waitcnt vmcnt(8)
	v_mul_f64 v[14:15], v[50:51], v[118:119]
	v_mul_f64 v[18:19], v[50:51], v[116:117]
	s_clause 0xf
	buffer_load_dword v50, off, s[40:43], 0 offset:728
	buffer_load_dword v51, off, s[40:43], 0 offset:732
	;; [unrolled: 1-line block ×16, first 2 shown]
	v_mul_f64 v[10:11], v[34:35], v[84:85]
	v_mul_f64 v[12:13], v[24:25], v[2:3]
	;; [unrolled: 1-line block ×3, first 2 shown]
	s_waitcnt vmcnt(16)
	v_mul_f64 v[30:31], v[72:73], v[112:113]
	v_mul_f64 v[20:21], v[68:69], v[106:107]
	v_fma_f64 v[26:27], v[28:29], v[108:109], v[4:5]
	v_fma_f64 v[4:5], v[32:33], v[84:85], v[6:7]
	v_fma_f64 v[28:29], v[28:29], v[110:111], -v[8:9]
	v_mul_f64 v[8:9], v[72:73], v[114:115]
	v_fma_f64 v[6:7], v[32:33], v[86:87], -v[10:11]
	v_mul_f64 v[10:11], v[68:69], v[104:105]
	v_fma_f64 v[24:25], v[22:23], v[0:1], v[12:13]
	v_fma_f64 v[0:1], v[48:49], v[116:117], v[14:15]
	v_fma_f64 v[46:47], v[22:23], v[2:3], -v[16:17]
	v_fma_f64 v[2:3], v[48:49], v[118:119], -v[18:19]
	v_fma_f64 v[20:21], v[66:67], v[104:105], v[20:21]
	v_add_f64 v[16:17], v[26:27], -v[4:5]
	v_fma_f64 v[8:9], v[70:71], v[112:113], v[8:9]
	v_add_f64 v[14:15], v[28:29], -v[6:7]
	v_fma_f64 v[22:23], v[66:67], v[106:107], -v[10:11]
	v_fma_f64 v[10:11], v[70:71], v[114:115], -v[30:31]
	v_add_f64 v[66:67], v[24:25], v[0:1]
	v_mul_f64 v[84:85], v[16:17], s[22:23]
	v_add_f64 v[72:73], v[20:21], v[8:9]
	v_mul_f64 v[70:71], v[14:15], s[26:27]
	v_mul_f64 v[86:87], v[14:15], s[22:23]
	v_add_f64 v[68:69], v[22:23], v[10:11]
	s_waitcnt vmcnt(12)
	v_mul_f64 v[32:33], v[52:53], v[94:95]
	s_waitcnt vmcnt(8)
	v_mul_f64 v[34:35], v[56:57], v[102:103]
	v_mul_f64 v[36:37], v[52:53], v[92:93]
	;; [unrolled: 1-line block ×3, first 2 shown]
	s_waitcnt vmcnt(0)
	v_mul_f64 v[42:43], v[64:65], v[98:99]
	v_mul_f64 v[40:41], v[60:61], v[90:91]
	;; [unrolled: 1-line block ×6, first 2 shown]
	v_add_f64 v[56:57], v[20:21], -v[8:9]
	v_add_f64 v[60:61], v[46:47], v[2:3]
	v_fma_f64 v[18:19], v[50:51], v[92:93], v[32:33]
	v_fma_f64 v[12:13], v[54:55], v[100:101], v[34:35]
	v_fma_f64 v[30:31], v[50:51], v[94:95], -v[36:37]
	v_fma_f64 v[32:33], v[54:55], v[102:103], -v[38:39]
	v_add_f64 v[36:37], v[82:83], v[28:29]
	v_fma_f64 v[38:39], v[62:63], v[96:97], v[42:43]
	v_add_f64 v[42:43], v[80:81], v[26:27]
	v_add_f64 v[50:51], v[46:47], -v[2:3]
	v_add_f64 v[26:27], v[26:27], v[4:5]
	v_mul_f64 v[54:55], v[14:15], s[28:29]
	v_fma_f64 v[34:35], v[58:59], v[88:89], v[40:41]
	v_add_f64 v[40:41], v[24:25], -v[0:1]
	v_add_f64 v[28:29], v[28:29], v[6:7]
	v_fma_f64 v[44:45], v[58:59], v[90:91], -v[44:45]
	v_add_f64 v[58:59], v[22:23], -v[10:11]
	v_fma_f64 v[48:49], v[62:63], v[98:99], -v[48:49]
	v_mul_f64 v[110:111], v[56:57], s[34:35]
	v_mul_f64 v[118:119], v[56:57], s[20:21]
	;; [unrolled: 1-line block ×3, first 2 shown]
	v_add_f64 v[62:63], v[18:19], -v[12:13]
	v_add_f64 v[74:75], v[30:31], -v[32:33]
	v_add_f64 v[36:37], v[36:37], v[46:47]
	v_add_f64 v[78:79], v[30:31], v[32:33]
	;; [unrolled: 1-line block ×3, first 2 shown]
	v_mul_f64 v[90:91], v[50:51], s[4:5]
	v_mul_f64 v[100:101], v[50:51], s[24:25]
	v_fma_f64 v[92:93], v[26:27], s[18:19], -v[54:55]
	v_fma_f64 v[54:55], v[26:27], s[18:19], v[54:55]
	v_mul_f64 v[96:97], v[40:41], s[24:25]
	v_fma_f64 v[102:103], v[28:29], s[16:17], v[64:65]
	v_mul_f64 v[104:105], v[40:41], s[36:37]
	v_mul_f64 v[98:99], v[58:59], s[26:27]
	v_fma_f64 v[108:109], v[26:27], s[16:17], -v[70:71]
	v_fma_f64 v[64:65], v[28:29], s[16:17], -v[64:65]
	v_fma_f64 v[70:71], v[26:27], s[16:17], v[70:71]
	v_fma_f64 v[112:113], v[28:29], s[12:13], v[84:85]
	v_mul_f64 v[42:43], v[40:41], s[4:5]
	v_fma_f64 v[88:89], v[28:29], s[18:19], v[52:53]
	v_fma_f64 v[52:53], v[28:29], s[18:19], -v[52:53]
	v_mul_f64 v[106:107], v[50:51], s[36:37]
	v_fma_f64 v[114:115], v[26:27], s[12:13], -v[86:87]
	v_fma_f64 v[84:85], v[28:29], s[12:13], -v[84:85]
	v_fma_f64 v[86:87], v[26:27], s[12:13], v[86:87]
	v_add_f64 v[22:23], v[36:37], v[22:23]
	v_mul_f64 v[36:37], v[58:59], s[34:35]
	v_add_f64 v[20:21], v[24:25], v[20:21]
	v_fma_f64 v[116:117], v[66:67], s[2:3], -v[90:91]
	v_fma_f64 v[90:91], v[66:67], s[2:3], v[90:91]
	v_add_f64 v[92:93], v[80:81], v[92:93]
	v_add_f64 v[54:55], v[80:81], v[54:55]
	v_fma_f64 v[120:121], v[60:61], s[12:13], v[96:97]
	v_add_f64 v[102:103], v[82:83], v[102:103]
	v_fma_f64 v[122:123], v[66:67], s[12:13], -v[100:101]
	v_fma_f64 v[96:97], v[60:61], s[12:13], -v[96:97]
	v_add_f64 v[108:109], v[80:81], v[108:109]
	v_fma_f64 v[100:101], v[66:67], s[12:13], v[100:101]
	v_add_f64 v[64:65], v[82:83], v[64:65]
	v_add_f64 v[70:71], v[80:81], v[70:71]
	;; [unrolled: 1-line block ×3, first 2 shown]
	v_fma_f64 v[24:25], v[60:61], s[2:3], v[42:43]
	v_add_f64 v[88:89], v[82:83], v[88:89]
	v_fma_f64 v[42:43], v[60:61], s[2:3], -v[42:43]
	v_add_f64 v[52:53], v[82:83], v[52:53]
	v_add_f64 v[46:47], v[18:19], v[12:13]
	;; [unrolled: 1-line block ×4, first 2 shown]
	v_fma_f64 v[30:31], v[60:61], s[18:19], v[104:105]
	v_add_f64 v[18:19], v[20:21], v[18:19]
	v_fma_f64 v[20:21], v[66:67], s[18:19], -v[106:107]
	v_fma_f64 v[104:105], v[60:61], s[18:19], -v[104:105]
	v_add_f64 v[92:93], v[116:117], v[92:93]
	v_add_f64 v[54:55], v[90:91], v[54:55]
	v_fma_f64 v[90:91], v[72:73], s[16:17], -v[98:99]
	v_add_f64 v[102:103], v[120:121], v[102:103]
	v_mul_f64 v[116:117], v[62:63], s[20:21]
	v_fma_f64 v[98:99], v[72:73], s[16:17], v[98:99]
	v_add_f64 v[108:109], v[122:123], v[108:109]
	v_fma_f64 v[122:123], v[68:69], s[2:3], v[110:111]
	v_add_f64 v[64:65], v[96:97], v[64:65]
	v_mul_f64 v[96:97], v[62:63], s[28:29]
	v_add_f64 v[70:71], v[100:101], v[70:71]
	v_fma_f64 v[100:101], v[72:73], s[2:3], -v[36:37]
	v_fma_f64 v[110:111], v[68:69], s[2:3], -v[110:111]
	v_fma_f64 v[36:37], v[72:73], s[2:3], v[36:37]
	v_add_f64 v[24:25], v[24:25], v[88:89]
	v_mul_f64 v[88:89], v[58:59], s[20:21]
	v_add_f64 v[42:43], v[42:43], v[52:53]
	v_fma_f64 v[52:53], v[68:69], s[16:17], v[94:95]
	v_add_f64 v[30:31], v[30:31], v[112:113]
	v_fma_f64 v[94:95], v[68:69], s[16:17], -v[94:95]
	v_fma_f64 v[106:107], v[66:67], s[18:19], v[106:107]
	v_add_f64 v[84:85], v[82:83], v[84:85]
	v_add_f64 v[86:87], v[80:81], v[86:87]
	v_add_f64 v[22:23], v[22:23], v[44:45]
	v_add_f64 v[90:91], v[90:91], v[92:93]
	v_fma_f64 v[92:93], v[68:69], s[14:15], v[118:119]
	v_add_f64 v[18:19], v[18:19], v[34:35]
	v_mul_f64 v[120:121], v[74:75], s[20:21]
	v_add_f64 v[20:21], v[20:21], v[114:115]
	v_add_f64 v[102:103], v[122:123], v[102:103]
	;; [unrolled: 1-line block ×3, first 2 shown]
	v_fma_f64 v[98:99], v[78:79], s[14:15], v[116:117]
	v_fma_f64 v[118:119], v[68:69], s[14:15], -v[118:119]
	v_add_f64 v[100:101], v[100:101], v[108:109]
	v_fma_f64 v[108:109], v[78:79], s[18:19], v[96:97]
	v_add_f64 v[64:65], v[110:111], v[64:65]
	v_fma_f64 v[96:97], v[78:79], s[18:19], -v[96:97]
	v_add_f64 v[36:37], v[36:37], v[70:71]
	v_mul_f64 v[70:71], v[16:17], s[30:31]
	v_mul_f64 v[16:17], v[16:17], s[34:35]
	v_add_f64 v[24:25], v[52:53], v[24:25]
	v_add_f64 v[42:43], v[94:95], v[42:43]
	v_fma_f64 v[94:95], v[72:73], s[14:15], -v[88:89]
	v_add_f64 v[84:85], v[104:105], v[84:85]
	v_add_f64 v[86:87], v[106:107], v[86:87]
	v_mul_f64 v[106:107], v[40:41], s[26:27]
	v_mul_f64 v[40:41], v[40:41], s[30:31]
	v_add_f64 v[30:31], v[92:93], v[30:31]
	v_mul_f64 v[92:93], v[14:15], s[34:35]
	v_mul_f64 v[14:15], v[14:15], s[30:31]
	v_fma_f64 v[88:89], v[72:73], s[14:15], v[88:89]
	v_add_f64 v[22:23], v[22:23], v[48:49]
	v_add_f64 v[18:19], v[18:19], v[38:39]
	v_mul_f64 v[112:113], v[74:75], s[28:29]
	v_mul_f64 v[114:115], v[62:63], s[34:35]
	;; [unrolled: 1-line block ×3, first 2 shown]
	v_add_f64 v[102:103], v[108:109], v[102:103]
	v_fma_f64 v[122:123], v[46:47], s[14:15], -v[120:121]
	v_add_f64 v[64:65], v[96:97], v[64:65]
	v_fma_f64 v[116:117], v[78:79], s[14:15], -v[116:117]
	v_fma_f64 v[96:97], v[28:29], s[14:15], -v[70:71]
	;; [unrolled: 1-line block ×3, first 2 shown]
	v_fma_f64 v[70:71], v[28:29], s[14:15], v[70:71]
	v_fma_f64 v[16:17], v[28:29], s[2:3], v[16:17]
	v_add_f64 v[20:21], v[94:95], v[20:21]
	v_add_f64 v[94:95], v[34:35], -v[38:39]
	v_add_f64 v[24:25], v[98:99], v[24:25]
	v_add_f64 v[98:99], v[44:45], -v[48:49]
	v_add_f64 v[44:45], v[44:45], v[48:49]
	v_add_f64 v[34:35], v[34:35], v[38:39]
	v_fma_f64 v[108:109], v[26:27], s[2:3], v[92:93]
	v_fma_f64 v[28:29], v[26:27], s[14:15], v[14:15]
	v_fma_f64 v[14:15], v[26:27], s[14:15], -v[14:15]
	v_fma_f64 v[26:27], v[26:27], s[2:3], -v[92:93]
	v_mul_f64 v[92:93], v[50:51], s[30:31]
	v_mul_f64 v[50:51], v[50:51], s[26:27]
	v_add_f64 v[84:85], v[118:119], v[84:85]
	v_fma_f64 v[48:49], v[60:61], s[16:17], -v[106:107]
	v_fma_f64 v[118:119], v[60:61], s[14:15], -v[40:41]
	v_fma_f64 v[106:107], v[60:61], s[16:17], v[106:107]
	v_add_f64 v[86:87], v[88:89], v[86:87]
	v_mul_f64 v[88:89], v[58:59], s[36:37]
	v_add_f64 v[96:97], v[82:83], v[96:97]
	v_add_f64 v[104:105], v[82:83], v[104:105]
	;; [unrolled: 1-line block ×4, first 2 shown]
	v_mul_f64 v[82:83], v[56:57], s[36:37]
	v_mul_f64 v[56:57], v[56:57], s[22:23]
	v_fma_f64 v[40:41], v[60:61], s[14:15], v[40:41]
	v_mul_f64 v[58:59], v[58:59], s[22:23]
	v_add_f64 v[22:23], v[22:23], v[32:33]
	v_add_f64 v[12:13], v[18:19], v[12:13]
	v_add_f64 v[38:39], v[80:81], v[108:109]
	v_add_f64 v[28:29], v[80:81], v[28:29]
	v_add_f64 v[14:15], v[80:81], v[14:15]
	v_add_f64 v[26:27], v[80:81], v[26:27]
	v_fma_f64 v[108:109], v[66:67], s[14:15], v[92:93]
	v_fma_f64 v[80:81], v[66:67], s[16:17], v[50:51]
	v_fma_f64 v[50:51], v[66:67], s[16:17], -v[50:51]
	v_fma_f64 v[60:61], v[66:67], s[14:15], -v[92:93]
	;; [unrolled: 1-line block ×3, first 2 shown]
	v_fma_f64 v[112:113], v[46:47], s[18:19], v[112:113]
	v_add_f64 v[90:91], v[122:123], v[90:91]
	v_fma_f64 v[122:123], v[78:79], s[2:3], v[114:115]
	v_add_f64 v[42:43], v[116:117], v[42:43]
	v_fma_f64 v[116:117], v[46:47], s[2:3], -v[52:53]
	v_add_f64 v[48:49], v[48:49], v[96:97]
	v_add_f64 v[96:97], v[118:119], v[104:105]
	v_fma_f64 v[18:19], v[68:69], s[18:19], -v[82:83]
	v_add_f64 v[70:71], v[106:107], v[70:71]
	v_mul_f64 v[106:107], v[62:63], s[24:25]
	v_mul_f64 v[62:63], v[62:63], s[26:27]
	v_fma_f64 v[82:83], v[68:69], s[18:19], v[82:83]
	v_add_f64 v[16:17], v[40:41], v[16:17]
	v_mul_f64 v[40:41], v[74:75], s[26:27]
	v_mul_f64 v[74:75], v[74:75], s[24:25]
	;; [unrolled: 1-line block ×3, first 2 shown]
	v_fma_f64 v[114:115], v[78:79], s[2:3], -v[114:115]
	v_add_f64 v[38:39], v[108:109], v[38:39]
	v_add_f64 v[28:29], v[80:81], v[28:29]
	v_fma_f64 v[80:81], v[68:69], s[12:13], -v[56:57]
	v_add_f64 v[14:15], v[50:51], v[14:15]
	v_fma_f64 v[50:51], v[72:73], s[18:19], v[88:89]
	v_fma_f64 v[56:57], v[68:69], s[12:13], v[56:57]
	;; [unrolled: 1-line block ×3, first 2 shown]
	v_fma_f64 v[88:89], v[72:73], s[18:19], -v[88:89]
	v_fma_f64 v[58:59], v[72:73], s[12:13], -v[58:59]
	v_add_f64 v[26:27], v[60:61], v[26:27]
	v_add_f64 v[10:11], v[22:23], v[10:11]
	;; [unrolled: 1-line block ×6, first 2 shown]
	v_mul_f64 v[30:31], v[94:95], s[22:23]
	v_add_f64 v[112:113], v[116:117], v[20:21]
	v_mul_f64 v[20:21], v[98:99], s[22:23]
	v_mul_f64 v[116:117], v[94:95], s[20:21]
	;; [unrolled: 1-line block ×4, first 2 shown]
	v_fma_f64 v[52:53], v[46:47], s[2:3], v[52:53]
	v_mul_f64 v[22:23], v[98:99], s[4:5]
	v_mul_f64 v[98:99], v[98:99], s[28:29]
	v_add_f64 v[80:81], v[80:81], v[96:97]
	v_mul_f64 v[96:97], v[94:95], s[4:5]
	v_mul_f64 v[94:95], v[94:95], s[28:29]
	v_add_f64 v[28:29], v[50:51], v[28:29]
	v_add_f64 v[38:39], v[68:69], v[38:39]
	v_fma_f64 v[68:69], v[78:79], s[16:17], -v[62:63]
	v_fma_f64 v[50:51], v[46:47], s[16:17], v[40:41]
	v_add_f64 v[18:19], v[18:19], v[48:49]
	v_fma_f64 v[12:13], v[78:79], s[12:13], -v[106:107]
	v_add_f64 v[70:71], v[82:83], v[70:71]
	v_fma_f64 v[82:83], v[46:47], s[12:13], v[74:75]
	v_fma_f64 v[120:121], v[46:47], s[14:15], v[120:121]
	;; [unrolled: 1-line block ×3, first 2 shown]
	v_add_f64 v[14:15], v[88:89], v[14:15]
	v_fma_f64 v[74:75], v[46:47], s[12:13], -v[74:75]
	v_fma_f64 v[62:63], v[78:79], s[16:17], v[62:63]
	v_add_f64 v[16:17], v[56:57], v[16:17]
	v_fma_f64 v[40:41], v[46:47], s[16:17], -v[40:41]
	v_add_f64 v[26:27], v[58:59], v[26:27]
	v_fma_f64 v[48:49], v[44:45], s[16:17], v[92:93]
	v_fma_f64 v[46:47], v[44:45], s[16:17], -v[92:93]
	v_add_f64 v[56:57], v[114:115], v[84:85]
	v_add_f64 v[92:93], v[10:11], v[2:3]
	;; [unrolled: 1-line block ×3, first 2 shown]
	v_fma_f64 v[104:105], v[44:45], s[12:13], v[30:31]
	v_fma_f64 v[30:31], v[44:45], s[12:13], -v[30:31]
	v_add_f64 v[52:53], v[52:53], v[86:87]
	v_fma_f64 v[86:87], v[44:45], s[18:19], -v[94:95]
	v_add_f64 v[68:69], v[68:69], v[80:81]
	v_fma_f64 v[80:81], v[34:35], s[18:19], v[98:99]
	v_add_f64 v[38:39], v[50:51], v[38:39]
	v_fma_f64 v[88:89], v[34:35], s[16:17], -v[72:73]
	v_fma_f64 v[58:59], v[34:35], s[16:17], v[72:73]
	v_fma_f64 v[72:73], v[44:45], s[2:3], -v[96:97]
	v_add_f64 v[78:79], v[12:13], v[18:19]
	v_fma_f64 v[84:85], v[34:35], s[2:3], v[22:23]
	v_add_f64 v[50:51], v[82:83], v[28:29]
	v_add_f64 v[54:55], v[120:121], v[54:55]
	v_fma_f64 v[32:33], v[34:35], s[12:13], -v[20:21]
	v_fma_f64 v[20:21], v[34:35], s[12:13], v[20:21]
	v_fma_f64 v[108:109], v[44:45], s[14:15], v[116:117]
	v_fma_f64 v[60:61], v[34:35], s[14:15], -v[66:67]
	v_fma_f64 v[116:117], v[44:45], s[14:15], -v[116:117]
	v_fma_f64 v[66:67], v[34:35], s[14:15], v[66:67]
	v_fma_f64 v[82:83], v[44:45], s[2:3], v[96:97]
	v_add_f64 v[70:71], v[106:107], v[70:71]
	v_fma_f64 v[96:97], v[34:35], s[2:3], -v[22:23]
	v_add_f64 v[74:75], v[74:75], v[14:15]
	v_fma_f64 v[44:45], v[44:45], s[18:19], v[94:95]
	v_add_f64 v[62:63], v[62:63], v[16:17]
	v_fma_f64 v[94:95], v[34:35], s[18:19], -v[98:99]
	v_add_f64 v[40:41], v[40:41], v[26:27]
	v_add_f64 v[6:7], v[92:93], v[6:7]
	;; [unrolled: 1-line block ×23, first 2 shown]
	ds_write_b128 v156, v[4:7] offset:704
	ds_write_b128 v156, v[28:31] offset:2048
	;; [unrolled: 1-line block ×11, first 2 shown]
.LBB0_29:
	s_or_b32 exec_lo, exec_lo, s1
	s_waitcnt lgkmcnt(0)
	s_barrier
	buffer_gl0_inv
	ds_read_b128 v[0:3], v156
	ds_read_b128 v[4:7], v156 offset:7392
	ds_read_b128 v[8:11], v156 offset:704
	s_clause 0x1
	buffer_load_dword v12, off, s[40:43], 0 offset:28
	buffer_load_dword v13, off, s[40:43], 0 offset:32
	v_mad_u64_u32 v[30:31], null, s8, v169, 0
	s_mul_i32 s1, s9, 0x1ce
	s_mul_hi_u32 s4, s8, 0x1ce
	s_mul_i32 s0, s8, 0x1ce
	s_add_i32 s1, s4, s1
	s_mov_b32 s2, 0x4046ed29
	s_lshl_b64 s[4:5], s[0:1], 4
	v_mov_b32_e32 v17, v31
	s_mov_b32 s3, 0x3f51bb4a
	s_mul_i32 s1, s9, 0xfffffe5e
	s_waitcnt vmcnt(1)
	v_mov_b32_e32 v18, v12
	s_waitcnt vmcnt(0)
	ds_read_b128 v[12:15], v156 offset:8096
	s_clause 0x7
	buffer_load_dword v48, off, s[40:43], 0 offset:12
	buffer_load_dword v49, off, s[40:43], 0 offset:16
	;; [unrolled: 1-line block ×8, first 2 shown]
	v_mad_u64_u32 v[28:29], null, s10, v18, 0
	v_mov_b32_e32 v16, v29
	v_mad_u64_u32 v[44:45], null, s11, v18, v[16:17]
	v_mad_u64_u32 v[45:46], null, s9, v169, v[17:18]
	v_mov_b32_e32 v29, v44
	v_mov_b32_e32 v31, v45
	v_lshlrev_b64 v[28:29], 4, v[28:29]
	v_lshlrev_b64 v[30:31], 4, v[30:31]
	s_waitcnt vmcnt(4) lgkmcnt(3)
	v_mul_f64 v[32:33], v[50:51], v[2:3]
	v_mul_f64 v[34:35], v[50:51], v[0:1]
	s_clause 0x3
	buffer_load_dword v50, off, s[40:43], 0 offset:52
	buffer_load_dword v51, off, s[40:43], 0 offset:56
	;; [unrolled: 1-line block ×4, first 2 shown]
	ds_read_b128 v[16:19], v156 offset:8800
	ds_read_b128 v[20:23], v156 offset:1408
	;; [unrolled: 1-line block ×3, first 2 shown]
	s_waitcnt vmcnt(4) lgkmcnt(5)
	v_mul_f64 v[36:37], v[58:59], v[6:7]
	v_mul_f64 v[38:39], v[58:59], v[4:5]
	v_fma_f64 v[0:1], v[48:49], v[0:1], v[32:33]
	v_fma_f64 v[2:3], v[48:49], v[2:3], -v[34:35]
	v_fma_f64 v[4:5], v[56:57], v[4:5], v[36:37]
	v_fma_f64 v[6:7], v[56:57], v[6:7], -v[38:39]
	v_mul_f64 v[0:1], v[0:1], s[2:3]
	v_mul_f64 v[2:3], v[2:3], s[2:3]
	;; [unrolled: 1-line block ×4, first 2 shown]
	s_waitcnt vmcnt(0) lgkmcnt(4)
	v_mul_f64 v[40:41], v[52:53], v[10:11]
	v_mul_f64 v[42:43], v[52:53], v[8:9]
	s_clause 0x7
	buffer_load_dword v52, off, s[40:43], 0 offset:308
	buffer_load_dword v53, off, s[40:43], 0 offset:312
	;; [unrolled: 1-line block ×8, first 2 shown]
	v_fma_f64 v[32:33], v[50:51], v[8:9], v[40:41]
	v_fma_f64 v[34:35], v[50:51], v[10:11], -v[42:43]
	v_add_co_u32 v8, s0, s6, v28
	v_add_co_ci_u32_e64 v9, s0, s7, v29, s0
	v_add_co_u32 v42, s0, v8, v30
	v_add_co_ci_u32_e64 v43, s0, v9, v31, s0
	ds_read_b128 v[8:11], v156 offset:9504
	s_clause 0x3
	buffer_load_dword v62, off, s[40:43], 0 offset:292
	buffer_load_dword v63, off, s[40:43], 0 offset:296
	;; [unrolled: 1-line block ×4, first 2 shown]
	ds_read_b128 v[28:31], v156 offset:2816
	v_add_co_u32 v50, s0, v42, s4
	v_add_co_ci_u32_e64 v51, s0, s5, v43, s0
	s_mul_hi_u32 s0, s8, 0xfffffe5e
	s_sub_i32 s0, s0, s8
	s_add_i32 s1, s0, s1
	s_mul_i32 s0, s8, 0xfffffe5e
	s_lshl_b64 s[6:7], s[0:1], 4
	s_waitcnt vmcnt(8) lgkmcnt(5)
	v_mul_f64 v[44:45], v[54:55], v[14:15]
	v_mul_f64 v[46:47], v[54:55], v[12:13]
	s_waitcnt vmcnt(4) lgkmcnt(3)
	v_mul_f64 v[40:41], v[60:61], v[22:23]
	v_mul_f64 v[48:49], v[60:61], v[20:21]
	v_fma_f64 v[36:37], v[52:53], v[12:13], v[44:45]
	v_fma_f64 v[38:39], v[52:53], v[14:15], -v[46:47]
	v_mul_f64 v[12:13], v[32:33], s[2:3]
	v_mul_f64 v[14:15], v[34:35], s[2:3]
	ds_read_b128 v[32:35], v156 offset:10208
	s_clause 0x3
	buffer_load_dword v86, off, s[40:43], 0 offset:276
	buffer_load_dword v87, off, s[40:43], 0 offset:280
	;; [unrolled: 1-line block ×4, first 2 shown]
	v_add_co_u32 v52, s0, v50, s6
	v_add_co_ci_u32_e64 v53, s0, s7, v51, s0
	s_waitcnt vmcnt(4)
	v_mul_f64 v[44:45], v[64:65], v[18:19]
	v_mul_f64 v[46:47], v[64:65], v[16:17]
	v_add_co_u32 v70, s0, v52, s4
	v_add_co_ci_u32_e64 v71, s0, s5, v53, s0
	v_fma_f64 v[40:41], v[58:59], v[20:21], v[40:41]
	v_fma_f64 v[48:49], v[58:59], v[22:23], -v[48:49]
	s_clause 0x3
	buffer_load_dword v82, off, s[40:43], 0 offset:260
	buffer_load_dword v83, off, s[40:43], 0 offset:264
	;; [unrolled: 1-line block ×4, first 2 shown]
	v_mul_f64 v[36:37], v[36:37], s[2:3]
	v_mul_f64 v[38:39], v[38:39], s[2:3]
	v_fma_f64 v[44:45], v[62:63], v[16:17], v[44:45]
	v_fma_f64 v[46:47], v[62:63], v[18:19], -v[46:47]
	ds_read_b128 v[16:19], v156 offset:3520
	s_clause 0x3
	buffer_load_dword v78, off, s[40:43], 0 offset:244
	buffer_load_dword v79, off, s[40:43], 0 offset:248
	;; [unrolled: 1-line block ×4, first 2 shown]
	ds_read_b128 v[20:23], v156 offset:10912
	s_clause 0x3
	buffer_load_dword v72, off, s[40:43], 0 offset:228
	buffer_load_dword v73, off, s[40:43], 0 offset:232
	;; [unrolled: 1-line block ×4, first 2 shown]
	global_store_dwordx4 v[42:43], v[0:3], off
	global_store_dwordx4 v[50:51], v[4:7], off
	;; [unrolled: 1-line block ×4, first 2 shown]
	v_mul_f64 v[0:1], v[40:41], s[2:3]
	v_add_co_u32 v36, s0, v70, s6
	v_add_co_ci_u32_e64 v37, s0, s7, v71, s0
	v_mul_f64 v[2:3], v[48:49], s[2:3]
	v_add_co_u32 v42, s0, v36, s4
	v_add_co_ci_u32_e64 v43, s0, s5, v37, s0
	v_mul_f64 v[4:5], v[44:45], s[2:3]
	v_mul_f64 v[6:7], v[46:47], s[2:3]
	v_add_co_u32 v44, s0, v42, s6
	v_add_co_ci_u32_e64 v45, s0, s7, v43, s0
	v_add_co_u32 v50, s0, v44, s4
	v_add_co_ci_u32_e64 v51, s0, s5, v45, s0
	s_waitcnt vmcnt(12) lgkmcnt(5)
	v_mul_f64 v[54:55], v[88:89], v[26:27]
	v_mul_f64 v[56:57], v[88:89], v[24:25]
	s_waitcnt vmcnt(8) lgkmcnt(4)
	v_mul_f64 v[58:59], v[84:85], v[10:11]
	v_mul_f64 v[60:61], v[84:85], v[8:9]
	v_fma_f64 v[12:13], v[86:87], v[24:25], v[54:55]
	s_clause 0x3
	buffer_load_dword v52, off, s[40:43], 0 offset:212
	buffer_load_dword v53, off, s[40:43], 0 offset:216
	buffer_load_dword v54, off, s[40:43], 0 offset:220
	buffer_load_dword v55, off, s[40:43], 0 offset:224
	v_fma_f64 v[14:15], v[86:87], v[26:27], -v[56:57]
	s_waitcnt vmcnt(8) lgkmcnt(3)
	v_mul_f64 v[62:63], v[80:81], v[30:31]
	v_mul_f64 v[64:65], v[80:81], v[28:29]
	s_waitcnt vmcnt(4) lgkmcnt(2)
	v_mul_f64 v[66:67], v[74:75], v[34:35]
	v_mul_f64 v[68:69], v[74:75], v[32:33]
	v_fma_f64 v[24:25], v[82:83], v[8:9], v[58:59]
	v_fma_f64 v[26:27], v[82:83], v[10:11], -v[60:61]
	v_mul_f64 v[8:9], v[12:13], s[2:3]
	v_mul_f64 v[10:11], v[14:15], s[2:3]
	v_fma_f64 v[28:29], v[78:79], v[28:29], v[62:63]
	v_fma_f64 v[30:31], v[78:79], v[30:31], -v[64:65]
	v_fma_f64 v[32:33], v[72:73], v[32:33], v[66:67]
	v_fma_f64 v[34:35], v[72:73], v[34:35], -v[68:69]
	v_mul_f64 v[12:13], v[24:25], s[2:3]
	v_mul_f64 v[14:15], v[26:27], s[2:3]
	;; [unrolled: 1-line block ×6, first 2 shown]
	s_waitcnt vmcnt(0) lgkmcnt(1)
	v_mul_f64 v[38:39], v[54:55], v[18:19]
	v_mul_f64 v[40:41], v[54:55], v[16:17]
	s_clause 0x3
	buffer_load_dword v54, off, s[40:43], 0 offset:196
	buffer_load_dword v55, off, s[40:43], 0 offset:200
	;; [unrolled: 1-line block ×4, first 2 shown]
	global_store_dwordx4 v[36:37], v[0:3], off
	ds_read_b128 v[24:27], v156 offset:4224
	ds_read_b128 v[0:3], v156 offset:4928
	v_fma_f64 v[38:39], v[52:53], v[16:17], v[38:39]
	v_fma_f64 v[40:41], v[52:53], v[18:19], -v[40:41]
	v_add_co_u32 v52, s0, v50, s6
	v_add_co_ci_u32_e64 v53, s0, s7, v51, s0
	ds_read_b128 v[16:19], v156 offset:11616
	v_add_co_u32 v36, s0, v52, s4
	v_add_co_ci_u32_e64 v37, s0, s5, v53, s0
	s_clause 0x3
	buffer_load_dword v62, off, s[40:43], 0 offset:132
	buffer_load_dword v63, off, s[40:43], 0 offset:136
	;; [unrolled: 1-line block ×4, first 2 shown]
	global_store_dwordx4 v[42:43], v[4:7], off
	global_store_dwordx4 v[44:45], v[8:11], off
	;; [unrolled: 1-line block ×5, first 2 shown]
	ds_read_b128 v[8:11], v156 offset:12320
	s_clause 0x3
	buffer_load_dword v58, off, s[40:43], 0 offset:68
	buffer_load_dword v59, off, s[40:43], 0 offset:72
	;; [unrolled: 1-line block ×4, first 2 shown]
	v_add_co_u32 v44, s0, v36, s6
	v_add_co_ci_u32_e64 v45, s0, s7, v37, s0
	v_add_co_u32 v50, s0, v44, s4
	v_mul_f64 v[4:5], v[38:39], s[2:3]
	v_mul_f64 v[6:7], v[40:41], s[2:3]
	v_add_co_ci_u32_e64 v51, s0, s5, v45, s0
	s_waitcnt vmcnt(8) lgkmcnt(4)
	v_mul_f64 v[46:47], v[56:57], v[22:23]
	v_mul_f64 v[48:49], v[56:57], v[20:21]
	v_fma_f64 v[46:47], v[54:55], v[20:21], v[46:47]
	v_fma_f64 v[48:49], v[54:55], v[22:23], -v[48:49]
	ds_read_b128 v[12:15], v156 offset:5632
	ds_read_b128 v[20:23], v156 offset:13024
	;; [unrolled: 1-line block ×4, first 2 shown]
	s_clause 0xb
	buffer_load_dword v72, off, s[40:43], 0 offset:100
	buffer_load_dword v73, off, s[40:43], 0 offset:104
	;; [unrolled: 1-line block ×12, first 2 shown]
	s_waitcnt vmcnt(16) lgkmcnt(7)
	v_mul_f64 v[56:57], v[64:65], v[24:25]
	v_mul_f64 v[54:55], v[64:65], v[26:27]
	s_waitcnt vmcnt(12) lgkmcnt(5)
	v_mul_f64 v[40:41], v[60:61], v[18:19]
	v_mul_f64 v[42:43], v[60:61], v[16:17]
	;; [unrolled: 1-line block ×4, first 2 shown]
	v_fma_f64 v[26:27], v[62:63], v[26:27], -v[56:57]
	v_fma_f64 v[24:25], v[62:63], v[24:25], v[54:55]
	v_fma_f64 v[16:17], v[58:59], v[16:17], v[40:41]
	v_fma_f64 v[18:19], v[58:59], v[18:19], -v[42:43]
	s_waitcnt vmcnt(8)
	v_mul_f64 v[46:47], v[74:75], v[2:3]
	s_waitcnt vmcnt(4) lgkmcnt(4)
	v_mul_f64 v[52:53], v[70:71], v[10:11]
	s_waitcnt vmcnt(0) lgkmcnt(3)
	v_mul_f64 v[40:41], v[80:81], v[14:15]
	v_mul_f64 v[42:43], v[80:81], v[12:13]
	s_clause 0x3
	buffer_load_dword v80, off, s[40:43], 0 offset:148
	buffer_load_dword v81, off, s[40:43], 0 offset:152
	buffer_load_dword v82, off, s[40:43], 0 offset:156
	buffer_load_dword v83, off, s[40:43], 0 offset:160
	v_mul_f64 v[48:49], v[74:75], v[0:1]
	v_mul_f64 v[54:55], v[70:71], v[8:9]
	s_waitcnt vmcnt(0) lgkmcnt(2)
	v_mul_f64 v[56:57], v[82:83], v[22:23]
	v_mul_f64 v[58:59], v[82:83], v[20:21]
	s_clause 0x3
	buffer_load_dword v82, off, s[40:43], 0 offset:164
	buffer_load_dword v83, off, s[40:43], 0 offset:168
	;; [unrolled: 1-line block ×4, first 2 shown]
	v_fma_f64 v[20:21], v[80:81], v[20:21], v[56:57]
	v_fma_f64 v[22:23], v[80:81], v[22:23], -v[58:59]
	v_mul_f64 v[20:21], v[20:21], s[2:3]
	v_mul_f64 v[22:23], v[22:23], s[2:3]
	s_waitcnt vmcnt(0) lgkmcnt(1)
	v_mul_f64 v[60:61], v[84:85], v[30:31]
	v_mul_f64 v[62:63], v[84:85], v[28:29]
	s_clause 0x3
	buffer_load_dword v84, off, s[40:43], 0 offset:180
	buffer_load_dword v85, off, s[40:43], 0 offset:184
	;; [unrolled: 1-line block ×4, first 2 shown]
	global_store_dwordx4 v[44:45], v[4:7], off
	global_store_dwordx4 v[50:51], v[32:35], off
	v_fma_f64 v[34:35], v[68:69], v[8:9], v[52:53]
	v_mul_f64 v[4:5], v[24:25], s[2:3]
	v_mul_f64 v[6:7], v[26:27], s[2:3]
	v_fma_f64 v[24:25], v[72:73], v[0:1], v[46:47]
	v_fma_f64 v[26:27], v[72:73], v[2:3], -v[48:49]
	v_fma_f64 v[44:45], v[68:69], v[10:11], -v[54:55]
	v_mul_f64 v[0:1], v[16:17], s[2:3]
	v_mul_f64 v[2:3], v[18:19], s[2:3]
	v_fma_f64 v[16:17], v[78:79], v[12:13], v[40:41]
	v_fma_f64 v[18:19], v[78:79], v[14:15], -v[42:43]
	v_add_co_u32 v32, s0, v50, s6
	v_add_co_ci_u32_e64 v33, s0, s7, v51, s0
	v_add_co_u32 v40, s0, v32, s4
	v_add_co_ci_u32_e64 v41, s0, s5, v33, s0
	v_fma_f64 v[28:29], v[82:83], v[28:29], v[60:61]
	v_fma_f64 v[30:31], v[82:83], v[30:31], -v[62:63]
	v_add_co_u32 v42, s0, v40, s6
	v_add_co_ci_u32_e64 v43, s0, s7, v41, s0
	v_mul_f64 v[12:13], v[34:35], s[2:3]
	v_add_co_u32 v34, s0, v42, s4
	v_add_co_ci_u32_e64 v35, s0, s5, v43, s0
	v_mul_f64 v[8:9], v[24:25], s[2:3]
	v_mul_f64 v[10:11], v[26:27], s[2:3]
	;; [unrolled: 1-line block ×5, first 2 shown]
	global_store_dwordx4 v[32:33], v[4:7], off
	global_store_dwordx4 v[40:41], v[0:3], off
	v_mul_f64 v[24:25], v[28:29], s[2:3]
	v_mul_f64 v[26:27], v[30:31], s[2:3]
	global_store_dwordx4 v[42:43], v[8:11], off
	s_waitcnt vmcnt(0) lgkmcnt(0)
	v_mul_f64 v[64:65], v[86:87], v[38:39]
	v_mul_f64 v[66:67], v[86:87], v[36:37]
	v_fma_f64 v[36:37], v[84:85], v[36:37], v[64:65]
	v_fma_f64 v[38:39], v[84:85], v[38:39], -v[66:67]
	v_mul_f64 v[28:29], v[36:37], s[2:3]
	v_add_co_u32 v36, s0, v34, s6
	v_add_co_ci_u32_e64 v37, s0, s7, v35, s0
	v_mul_f64 v[30:31], v[38:39], s[2:3]
	v_add_co_u32 v4, s0, v36, s4
	v_add_co_ci_u32_e64 v5, s0, s5, v37, s0
	v_add_co_u32 v2, s0, v4, s6
	v_add_co_ci_u32_e64 v3, s0, s7, v5, s0
	;; [unrolled: 2-line block ×3, first 2 shown]
	global_store_dwordx4 v[34:35], v[12:15], off
	global_store_dwordx4 v[36:37], v[16:19], off
	;; [unrolled: 1-line block ×5, first 2 shown]
	s_and_b32 exec_lo, exec_lo, vcc_lo
	s_cbranch_execz .LBB0_31
; %bb.30:
	s_clause 0x1
	buffer_load_dword v2, off, s[40:43], 0 offset:4
	buffer_load_dword v3, off, s[40:43], 0 offset:8
	s_waitcnt vmcnt(0)
	global_load_dwordx4 v[2:5], v[2:3], off offset:896
	ds_read_b128 v[6:9], v156 offset:7040
	ds_read_b128 v[10:13], v156 offset:14432
	s_waitcnt vmcnt(0) lgkmcnt(1)
	v_mul_f64 v[14:15], v[8:9], v[4:5]
	v_mul_f64 v[4:5], v[6:7], v[4:5]
	v_fma_f64 v[6:7], v[6:7], v[2:3], v[14:15]
	v_fma_f64 v[4:5], v[2:3], v[8:9], -v[4:5]
	v_mul_f64 v[2:3], v[6:7], s[2:3]
	v_mul_f64 v[4:5], v[4:5], s[2:3]
	v_add_co_u32 v6, vcc_lo, v0, s6
	v_add_co_ci_u32_e32 v7, vcc_lo, s7, v1, vcc_lo
	global_store_dwordx4 v[6:7], v[2:5], off
	global_load_dwordx4 v[0:3], v[76:77], off offset:96
	s_waitcnt vmcnt(0) lgkmcnt(0)
	v_mul_f64 v[4:5], v[12:13], v[2:3]
	v_mul_f64 v[2:3], v[10:11], v[2:3]
	v_fma_f64 v[4:5], v[10:11], v[0:1], v[4:5]
	v_fma_f64 v[2:3], v[0:1], v[12:13], -v[2:3]
	v_mul_f64 v[0:1], v[4:5], s[2:3]
	v_mul_f64 v[2:3], v[2:3], s[2:3]
	v_add_co_u32 v4, vcc_lo, v6, s4
	v_add_co_ci_u32_e32 v5, vcc_lo, s5, v7, vcc_lo
	global_store_dwordx4 v[4:5], v[0:3], off
.LBB0_31:
	s_endpgm
	.section	.rodata,"a",@progbits
	.p2align	6, 0x0
	.amdhsa_kernel bluestein_single_back_len924_dim1_dp_op_CI_CI
		.amdhsa_group_segment_fixed_size 14784
		.amdhsa_private_segment_fixed_size 884
		.amdhsa_kernarg_size 104
		.amdhsa_user_sgpr_count 6
		.amdhsa_user_sgpr_private_segment_buffer 1
		.amdhsa_user_sgpr_dispatch_ptr 0
		.amdhsa_user_sgpr_queue_ptr 0
		.amdhsa_user_sgpr_kernarg_segment_ptr 1
		.amdhsa_user_sgpr_dispatch_id 0
		.amdhsa_user_sgpr_flat_scratch_init 0
		.amdhsa_user_sgpr_private_segment_size 0
		.amdhsa_wavefront_size32 1
		.amdhsa_uses_dynamic_stack 0
		.amdhsa_system_sgpr_private_segment_wavefront_offset 1
		.amdhsa_system_sgpr_workgroup_id_x 1
		.amdhsa_system_sgpr_workgroup_id_y 0
		.amdhsa_system_sgpr_workgroup_id_z 0
		.amdhsa_system_sgpr_workgroup_info 0
		.amdhsa_system_vgpr_workitem_id 0
		.amdhsa_next_free_vgpr 256
		.amdhsa_next_free_sgpr 44
		.amdhsa_reserve_vcc 1
		.amdhsa_reserve_flat_scratch 0
		.amdhsa_float_round_mode_32 0
		.amdhsa_float_round_mode_16_64 0
		.amdhsa_float_denorm_mode_32 3
		.amdhsa_float_denorm_mode_16_64 3
		.amdhsa_dx10_clamp 1
		.amdhsa_ieee_mode 1
		.amdhsa_fp16_overflow 0
		.amdhsa_workgroup_processor_mode 1
		.amdhsa_memory_ordered 1
		.amdhsa_forward_progress 0
		.amdhsa_shared_vgpr_count 0
		.amdhsa_exception_fp_ieee_invalid_op 0
		.amdhsa_exception_fp_denorm_src 0
		.amdhsa_exception_fp_ieee_div_zero 0
		.amdhsa_exception_fp_ieee_overflow 0
		.amdhsa_exception_fp_ieee_underflow 0
		.amdhsa_exception_fp_ieee_inexact 0
		.amdhsa_exception_int_div_zero 0
	.end_amdhsa_kernel
	.text
.Lfunc_end0:
	.size	bluestein_single_back_len924_dim1_dp_op_CI_CI, .Lfunc_end0-bluestein_single_back_len924_dim1_dp_op_CI_CI
                                        ; -- End function
	.section	.AMDGPU.csdata,"",@progbits
; Kernel info:
; codeLenInByte = 36148
; NumSgprs: 46
; NumVgprs: 256
; ScratchSize: 884
; MemoryBound: 0
; FloatMode: 240
; IeeeMode: 1
; LDSByteSize: 14784 bytes/workgroup (compile time only)
; SGPRBlocks: 5
; VGPRBlocks: 31
; NumSGPRsForWavesPerEU: 46
; NumVGPRsForWavesPerEU: 256
; Occupancy: 4
; WaveLimiterHint : 1
; COMPUTE_PGM_RSRC2:SCRATCH_EN: 1
; COMPUTE_PGM_RSRC2:USER_SGPR: 6
; COMPUTE_PGM_RSRC2:TRAP_HANDLER: 0
; COMPUTE_PGM_RSRC2:TGID_X_EN: 1
; COMPUTE_PGM_RSRC2:TGID_Y_EN: 0
; COMPUTE_PGM_RSRC2:TGID_Z_EN: 0
; COMPUTE_PGM_RSRC2:TIDIG_COMP_CNT: 0
	.text
	.p2alignl 6, 3214868480
	.fill 48, 4, 3214868480
	.type	__hip_cuid_b87882f18b22371a,@object ; @__hip_cuid_b87882f18b22371a
	.section	.bss,"aw",@nobits
	.globl	__hip_cuid_b87882f18b22371a
__hip_cuid_b87882f18b22371a:
	.byte	0                               ; 0x0
	.size	__hip_cuid_b87882f18b22371a, 1

	.ident	"AMD clang version 19.0.0git (https://github.com/RadeonOpenCompute/llvm-project roc-6.4.0 25133 c7fe45cf4b819c5991fe208aaa96edf142730f1d)"
	.section	".note.GNU-stack","",@progbits
	.addrsig
	.addrsig_sym __hip_cuid_b87882f18b22371a
	.amdgpu_metadata
---
amdhsa.kernels:
  - .args:
      - .actual_access:  read_only
        .address_space:  global
        .offset:         0
        .size:           8
        .value_kind:     global_buffer
      - .actual_access:  read_only
        .address_space:  global
        .offset:         8
        .size:           8
        .value_kind:     global_buffer
      - .actual_access:  read_only
        .address_space:  global
        .offset:         16
        .size:           8
        .value_kind:     global_buffer
      - .actual_access:  read_only
        .address_space:  global
        .offset:         24
        .size:           8
        .value_kind:     global_buffer
      - .actual_access:  read_only
        .address_space:  global
        .offset:         32
        .size:           8
        .value_kind:     global_buffer
      - .offset:         40
        .size:           8
        .value_kind:     by_value
      - .address_space:  global
        .offset:         48
        .size:           8
        .value_kind:     global_buffer
      - .address_space:  global
        .offset:         56
        .size:           8
        .value_kind:     global_buffer
      - .address_space:  global
        .offset:         64
        .size:           8
        .value_kind:     global_buffer
      - .address_space:  global
        .offset:         72
        .size:           8
        .value_kind:     global_buffer
      - .offset:         80
        .size:           4
        .value_kind:     by_value
      - .address_space:  global
        .offset:         88
        .size:           8
        .value_kind:     global_buffer
      - .address_space:  global
        .offset:         96
        .size:           8
        .value_kind:     global_buffer
    .group_segment_fixed_size: 14784
    .kernarg_segment_align: 8
    .kernarg_segment_size: 104
    .language:       OpenCL C
    .language_version:
      - 2
      - 0
    .max_flat_workgroup_size: 44
    .name:           bluestein_single_back_len924_dim1_dp_op_CI_CI
    .private_segment_fixed_size: 884
    .sgpr_count:     46
    .sgpr_spill_count: 0
    .symbol:         bluestein_single_back_len924_dim1_dp_op_CI_CI.kd
    .uniform_work_group_size: 1
    .uses_dynamic_stack: false
    .vgpr_count:     256
    .vgpr_spill_count: 220
    .wavefront_size: 32
    .workgroup_processor_mode: 1
amdhsa.target:   amdgcn-amd-amdhsa--gfx1030
amdhsa.version:
  - 1
  - 2
...

	.end_amdgpu_metadata
